;; amdgpu-corpus repo=ROCm/rocFFT kind=compiled arch=gfx1100 opt=O3
	.text
	.amdgcn_target "amdgcn-amd-amdhsa--gfx1100"
	.amdhsa_code_object_version 6
	.protected	fft_rtc_back_len2160_factors_10_6_6_6_wgs_60_tpt_60_halfLds_dp_op_CI_CI_unitstride_sbrr_C2R_dirReg ; -- Begin function fft_rtc_back_len2160_factors_10_6_6_6_wgs_60_tpt_60_halfLds_dp_op_CI_CI_unitstride_sbrr_C2R_dirReg
	.globl	fft_rtc_back_len2160_factors_10_6_6_6_wgs_60_tpt_60_halfLds_dp_op_CI_CI_unitstride_sbrr_C2R_dirReg
	.p2align	8
	.type	fft_rtc_back_len2160_factors_10_6_6_6_wgs_60_tpt_60_halfLds_dp_op_CI_CI_unitstride_sbrr_C2R_dirReg,@function
fft_rtc_back_len2160_factors_10_6_6_6_wgs_60_tpt_60_halfLds_dp_op_CI_CI_unitstride_sbrr_C2R_dirReg: ; @fft_rtc_back_len2160_factors_10_6_6_6_wgs_60_tpt_60_halfLds_dp_op_CI_CI_unitstride_sbrr_C2R_dirReg
; %bb.0:
	s_clause 0x2
	s_load_b128 s[8:11], s[0:1], 0x0
	s_load_b128 s[4:7], s[0:1], 0x58
	;; [unrolled: 1-line block ×3, first 2 shown]
	v_mul_u32_u24_e32 v1, 0x445, v0
	v_mov_b32_e32 v3, 0
	s_delay_alu instid0(VALU_DEP_2) | instskip(NEXT) | instid1(VALU_DEP_1)
	v_lshrrev_b32_e32 v1, 16, v1
	v_add_nc_u32_e32 v5, s15, v1
	v_mov_b32_e32 v1, 0
	v_mov_b32_e32 v2, 0
	;; [unrolled: 1-line block ×3, first 2 shown]
	s_waitcnt lgkmcnt(0)
	v_cmp_lt_u64_e64 s2, s[10:11], 2
	s_delay_alu instid0(VALU_DEP_1)
	s_and_b32 vcc_lo, exec_lo, s2
	s_cbranch_vccnz .LBB0_8
; %bb.1:
	s_load_b64 s[2:3], s[0:1], 0x10
	v_mov_b32_e32 v1, 0
	v_mov_b32_e32 v2, 0
	s_add_u32 s12, s18, 8
	s_addc_u32 s13, s19, 0
	s_add_u32 s14, s16, 8
	s_addc_u32 s15, s17, 0
	v_dual_mov_b32 v63, v2 :: v_dual_mov_b32 v62, v1
	s_mov_b64 s[22:23], 1
	s_waitcnt lgkmcnt(0)
	s_add_u32 s20, s2, 8
	s_addc_u32 s21, s3, 0
.LBB0_2:                                ; =>This Inner Loop Header: Depth=1
	s_load_b64 s[24:25], s[20:21], 0x0
                                        ; implicit-def: $vgpr64_vgpr65
	s_mov_b32 s2, exec_lo
	s_waitcnt lgkmcnt(0)
	v_or_b32_e32 v4, s25, v6
	s_delay_alu instid0(VALU_DEP_1)
	v_cmpx_ne_u64_e32 0, v[3:4]
	s_xor_b32 s3, exec_lo, s2
	s_cbranch_execz .LBB0_4
; %bb.3:                                ;   in Loop: Header=BB0_2 Depth=1
	v_cvt_f32_u32_e32 v4, s24
	v_cvt_f32_u32_e32 v7, s25
	s_sub_u32 s2, 0, s24
	s_subb_u32 s26, 0, s25
	s_delay_alu instid0(VALU_DEP_1) | instskip(NEXT) | instid1(VALU_DEP_1)
	v_fmac_f32_e32 v4, 0x4f800000, v7
	v_rcp_f32_e32 v4, v4
	s_waitcnt_depctr 0xfff
	v_mul_f32_e32 v4, 0x5f7ffffc, v4
	s_delay_alu instid0(VALU_DEP_1) | instskip(NEXT) | instid1(VALU_DEP_1)
	v_mul_f32_e32 v7, 0x2f800000, v4
	v_trunc_f32_e32 v7, v7
	s_delay_alu instid0(VALU_DEP_1) | instskip(SKIP_1) | instid1(VALU_DEP_2)
	v_fmac_f32_e32 v4, 0xcf800000, v7
	v_cvt_u32_f32_e32 v7, v7
	v_cvt_u32_f32_e32 v4, v4
	s_delay_alu instid0(VALU_DEP_2) | instskip(NEXT) | instid1(VALU_DEP_2)
	v_mul_lo_u32 v8, s2, v7
	v_mul_hi_u32 v9, s2, v4
	v_mul_lo_u32 v10, s26, v4
	s_delay_alu instid0(VALU_DEP_2) | instskip(SKIP_1) | instid1(VALU_DEP_2)
	v_add_nc_u32_e32 v8, v9, v8
	v_mul_lo_u32 v9, s2, v4
	v_add_nc_u32_e32 v8, v8, v10
	s_delay_alu instid0(VALU_DEP_2) | instskip(NEXT) | instid1(VALU_DEP_2)
	v_mul_hi_u32 v10, v4, v9
	v_mul_lo_u32 v11, v4, v8
	v_mul_hi_u32 v12, v4, v8
	v_mul_hi_u32 v13, v7, v9
	v_mul_lo_u32 v9, v7, v9
	v_mul_hi_u32 v14, v7, v8
	v_mul_lo_u32 v8, v7, v8
	v_add_co_u32 v10, vcc_lo, v10, v11
	v_add_co_ci_u32_e32 v11, vcc_lo, 0, v12, vcc_lo
	s_delay_alu instid0(VALU_DEP_2) | instskip(NEXT) | instid1(VALU_DEP_2)
	v_add_co_u32 v9, vcc_lo, v10, v9
	v_add_co_ci_u32_e32 v9, vcc_lo, v11, v13, vcc_lo
	v_add_co_ci_u32_e32 v10, vcc_lo, 0, v14, vcc_lo
	s_delay_alu instid0(VALU_DEP_2) | instskip(NEXT) | instid1(VALU_DEP_2)
	v_add_co_u32 v8, vcc_lo, v9, v8
	v_add_co_ci_u32_e32 v9, vcc_lo, 0, v10, vcc_lo
	s_delay_alu instid0(VALU_DEP_2) | instskip(NEXT) | instid1(VALU_DEP_2)
	v_add_co_u32 v4, vcc_lo, v4, v8
	v_add_co_ci_u32_e32 v7, vcc_lo, v7, v9, vcc_lo
	s_delay_alu instid0(VALU_DEP_2) | instskip(SKIP_1) | instid1(VALU_DEP_3)
	v_mul_hi_u32 v8, s2, v4
	v_mul_lo_u32 v10, s26, v4
	v_mul_lo_u32 v9, s2, v7
	s_delay_alu instid0(VALU_DEP_1) | instskip(SKIP_1) | instid1(VALU_DEP_2)
	v_add_nc_u32_e32 v8, v8, v9
	v_mul_lo_u32 v9, s2, v4
	v_add_nc_u32_e32 v8, v8, v10
	s_delay_alu instid0(VALU_DEP_2) | instskip(NEXT) | instid1(VALU_DEP_2)
	v_mul_hi_u32 v10, v4, v9
	v_mul_lo_u32 v11, v4, v8
	v_mul_hi_u32 v12, v4, v8
	v_mul_hi_u32 v13, v7, v9
	v_mul_lo_u32 v9, v7, v9
	v_mul_hi_u32 v14, v7, v8
	v_mul_lo_u32 v8, v7, v8
	v_add_co_u32 v10, vcc_lo, v10, v11
	v_add_co_ci_u32_e32 v11, vcc_lo, 0, v12, vcc_lo
	s_delay_alu instid0(VALU_DEP_2) | instskip(NEXT) | instid1(VALU_DEP_2)
	v_add_co_u32 v9, vcc_lo, v10, v9
	v_add_co_ci_u32_e32 v9, vcc_lo, v11, v13, vcc_lo
	v_add_co_ci_u32_e32 v10, vcc_lo, 0, v14, vcc_lo
	s_delay_alu instid0(VALU_DEP_2) | instskip(NEXT) | instid1(VALU_DEP_2)
	v_add_co_u32 v8, vcc_lo, v9, v8
	v_add_co_ci_u32_e32 v9, vcc_lo, 0, v10, vcc_lo
	s_delay_alu instid0(VALU_DEP_2) | instskip(NEXT) | instid1(VALU_DEP_2)
	v_add_co_u32 v4, vcc_lo, v4, v8
	v_add_co_ci_u32_e32 v13, vcc_lo, v7, v9, vcc_lo
	s_delay_alu instid0(VALU_DEP_2) | instskip(SKIP_1) | instid1(VALU_DEP_3)
	v_mul_hi_u32 v14, v5, v4
	v_mad_u64_u32 v[9:10], null, v6, v4, 0
	v_mad_u64_u32 v[7:8], null, v5, v13, 0
	;; [unrolled: 1-line block ×3, first 2 shown]
	s_delay_alu instid0(VALU_DEP_2) | instskip(NEXT) | instid1(VALU_DEP_3)
	v_add_co_u32 v4, vcc_lo, v14, v7
	v_add_co_ci_u32_e32 v7, vcc_lo, 0, v8, vcc_lo
	s_delay_alu instid0(VALU_DEP_2) | instskip(NEXT) | instid1(VALU_DEP_2)
	v_add_co_u32 v4, vcc_lo, v4, v9
	v_add_co_ci_u32_e32 v4, vcc_lo, v7, v10, vcc_lo
	v_add_co_ci_u32_e32 v7, vcc_lo, 0, v12, vcc_lo
	s_delay_alu instid0(VALU_DEP_2) | instskip(NEXT) | instid1(VALU_DEP_2)
	v_add_co_u32 v4, vcc_lo, v4, v11
	v_add_co_ci_u32_e32 v9, vcc_lo, 0, v7, vcc_lo
	s_delay_alu instid0(VALU_DEP_2) | instskip(SKIP_1) | instid1(VALU_DEP_3)
	v_mul_lo_u32 v10, s25, v4
	v_mad_u64_u32 v[7:8], null, s24, v4, 0
	v_mul_lo_u32 v11, s24, v9
	s_delay_alu instid0(VALU_DEP_2) | instskip(NEXT) | instid1(VALU_DEP_2)
	v_sub_co_u32 v7, vcc_lo, v5, v7
	v_add3_u32 v8, v8, v11, v10
	s_delay_alu instid0(VALU_DEP_1) | instskip(NEXT) | instid1(VALU_DEP_1)
	v_sub_nc_u32_e32 v10, v6, v8
	v_subrev_co_ci_u32_e64 v10, s2, s25, v10, vcc_lo
	v_add_co_u32 v11, s2, v4, 2
	s_delay_alu instid0(VALU_DEP_1) | instskip(SKIP_3) | instid1(VALU_DEP_3)
	v_add_co_ci_u32_e64 v12, s2, 0, v9, s2
	v_sub_co_u32 v13, s2, v7, s24
	v_sub_co_ci_u32_e32 v8, vcc_lo, v6, v8, vcc_lo
	v_subrev_co_ci_u32_e64 v10, s2, 0, v10, s2
	v_cmp_le_u32_e32 vcc_lo, s24, v13
	s_delay_alu instid0(VALU_DEP_3) | instskip(SKIP_1) | instid1(VALU_DEP_4)
	v_cmp_eq_u32_e64 s2, s25, v8
	v_cndmask_b32_e64 v13, 0, -1, vcc_lo
	v_cmp_le_u32_e32 vcc_lo, s25, v10
	v_cndmask_b32_e64 v14, 0, -1, vcc_lo
	v_cmp_le_u32_e32 vcc_lo, s24, v7
	;; [unrolled: 2-line block ×3, first 2 shown]
	v_cndmask_b32_e64 v15, 0, -1, vcc_lo
	v_cmp_eq_u32_e32 vcc_lo, s25, v10
	s_delay_alu instid0(VALU_DEP_2) | instskip(SKIP_3) | instid1(VALU_DEP_3)
	v_cndmask_b32_e64 v7, v15, v7, s2
	v_cndmask_b32_e32 v10, v14, v13, vcc_lo
	v_add_co_u32 v13, vcc_lo, v4, 1
	v_add_co_ci_u32_e32 v14, vcc_lo, 0, v9, vcc_lo
	v_cmp_ne_u32_e32 vcc_lo, 0, v10
	s_delay_alu instid0(VALU_DEP_2) | instskip(NEXT) | instid1(VALU_DEP_4)
	v_cndmask_b32_e32 v8, v14, v12, vcc_lo
	v_cndmask_b32_e32 v10, v13, v11, vcc_lo
	v_cmp_ne_u32_e32 vcc_lo, 0, v7
	s_delay_alu instid0(VALU_DEP_2)
	v_dual_cndmask_b32 v65, v9, v8 :: v_dual_cndmask_b32 v64, v4, v10
.LBB0_4:                                ;   in Loop: Header=BB0_2 Depth=1
	s_and_not1_saveexec_b32 s2, s3
	s_cbranch_execz .LBB0_6
; %bb.5:                                ;   in Loop: Header=BB0_2 Depth=1
	v_cvt_f32_u32_e32 v4, s24
	s_sub_i32 s3, 0, s24
	v_mov_b32_e32 v65, v3
	s_delay_alu instid0(VALU_DEP_2) | instskip(SKIP_2) | instid1(VALU_DEP_1)
	v_rcp_iflag_f32_e32 v4, v4
	s_waitcnt_depctr 0xfff
	v_mul_f32_e32 v4, 0x4f7ffffe, v4
	v_cvt_u32_f32_e32 v4, v4
	s_delay_alu instid0(VALU_DEP_1) | instskip(NEXT) | instid1(VALU_DEP_1)
	v_mul_lo_u32 v7, s3, v4
	v_mul_hi_u32 v7, v4, v7
	s_delay_alu instid0(VALU_DEP_1) | instskip(NEXT) | instid1(VALU_DEP_1)
	v_add_nc_u32_e32 v4, v4, v7
	v_mul_hi_u32 v4, v5, v4
	s_delay_alu instid0(VALU_DEP_1) | instskip(SKIP_1) | instid1(VALU_DEP_2)
	v_mul_lo_u32 v7, v4, s24
	v_add_nc_u32_e32 v8, 1, v4
	v_sub_nc_u32_e32 v7, v5, v7
	s_delay_alu instid0(VALU_DEP_1) | instskip(SKIP_1) | instid1(VALU_DEP_2)
	v_subrev_nc_u32_e32 v9, s24, v7
	v_cmp_le_u32_e32 vcc_lo, s24, v7
	v_dual_cndmask_b32 v7, v7, v9 :: v_dual_cndmask_b32 v4, v4, v8
	s_delay_alu instid0(VALU_DEP_1) | instskip(NEXT) | instid1(VALU_DEP_2)
	v_cmp_le_u32_e32 vcc_lo, s24, v7
	v_add_nc_u32_e32 v8, 1, v4
	s_delay_alu instid0(VALU_DEP_1)
	v_cndmask_b32_e32 v64, v4, v8, vcc_lo
.LBB0_6:                                ;   in Loop: Header=BB0_2 Depth=1
	s_or_b32 exec_lo, exec_lo, s2
	s_delay_alu instid0(VALU_DEP_1) | instskip(NEXT) | instid1(VALU_DEP_2)
	v_mul_lo_u32 v4, v65, s24
	v_mul_lo_u32 v9, v64, s25
	s_load_b64 s[2:3], s[14:15], 0x0
	v_mad_u64_u32 v[7:8], null, v64, s24, 0
	s_load_b64 s[24:25], s[12:13], 0x0
	s_add_u32 s22, s22, 1
	s_addc_u32 s23, s23, 0
	s_add_u32 s12, s12, 8
	s_addc_u32 s13, s13, 0
	s_add_u32 s14, s14, 8
	s_delay_alu instid0(VALU_DEP_1) | instskip(SKIP_3) | instid1(VALU_DEP_2)
	v_add3_u32 v4, v8, v9, v4
	v_sub_co_u32 v8, vcc_lo, v5, v7
	s_addc_u32 s15, s15, 0
	s_add_u32 s20, s20, 8
	v_sub_co_ci_u32_e32 v6, vcc_lo, v6, v4, vcc_lo
	s_addc_u32 s21, s21, 0
	s_waitcnt lgkmcnt(0)
	s_delay_alu instid0(VALU_DEP_1)
	v_mul_lo_u32 v9, s2, v6
	v_mul_lo_u32 v10, s3, v8
	v_mad_u64_u32 v[4:5], null, s2, v8, v[1:2]
	v_mul_lo_u32 v11, s24, v6
	v_mul_lo_u32 v12, s25, v8
	v_mad_u64_u32 v[6:7], null, s24, v8, v[62:63]
	v_cmp_ge_u64_e64 s2, s[22:23], s[10:11]
	v_add3_u32 v2, v10, v5, v9
	s_delay_alu instid0(VALU_DEP_3) | instskip(NEXT) | instid1(VALU_DEP_4)
	v_dual_mov_b32 v1, v4 :: v_dual_mov_b32 v62, v6
	v_add3_u32 v63, v12, v7, v11
	s_delay_alu instid0(VALU_DEP_4)
	s_and_b32 vcc_lo, exec_lo, s2
	s_cbranch_vccnz .LBB0_9
; %bb.7:                                ;   in Loop: Header=BB0_2 Depth=1
	v_dual_mov_b32 v5, v64 :: v_dual_mov_b32 v6, v65
	s_branch .LBB0_2
.LBB0_8:
	v_dual_mov_b32 v63, v2 :: v_dual_mov_b32 v62, v1
	v_dual_mov_b32 v65, v6 :: v_dual_mov_b32 v64, v5
.LBB0_9:
	s_load_b64 s[0:1], s[0:1], 0x28
	v_mul_hi_u32 v3, 0x4444445, v0
	s_lshl_b64 s[10:11], s[10:11], 3
                                        ; implicit-def: $vgpr253
	s_delay_alu instid0(SALU_CYCLE_1) | instskip(SKIP_4) | instid1(VALU_DEP_1)
	s_add_u32 s2, s18, s10
	s_addc_u32 s3, s19, s11
	s_waitcnt lgkmcnt(0)
	v_cmp_gt_u64_e32 vcc_lo, s[0:1], v[64:65]
	v_cmp_le_u64_e64 s0, s[0:1], v[64:65]
	s_and_saveexec_b32 s1, s0
	s_delay_alu instid0(SALU_CYCLE_1)
	s_xor_b32 s0, exec_lo, s1
; %bb.10:
	v_mul_u32_u24_e32 v1, 60, v3
                                        ; implicit-def: $vgpr3
	s_delay_alu instid0(VALU_DEP_1)
	v_sub_nc_u32_e32 v253, v0, v1
                                        ; implicit-def: $vgpr0
                                        ; implicit-def: $vgpr1_vgpr2
; %bb.11:
	s_or_saveexec_b32 s1, s0
	s_load_b64 s[2:3], s[2:3], 0x0
	s_xor_b32 exec_lo, exec_lo, s1
	s_cbranch_execz .LBB0_15
; %bb.12:
	s_add_u32 s10, s16, s10
	s_addc_u32 s11, s17, s11
	v_mul_u32_u24_e32 v3, 60, v3
	s_load_b64 s[10:11], s[10:11], 0x0
	s_delay_alu instid0(VALU_DEP_1) | instskip(SKIP_1) | instid1(VALU_DEP_2)
	v_sub_nc_u32_e32 v253, v0, v3
	v_lshlrev_b64 v[0:1], 4, v[1:2]
	v_lshlrev_b32_e32 v60, 4, v253
	s_waitcnt lgkmcnt(0)
	v_mul_lo_u32 v6, s11, v64
	v_mul_lo_u32 v7, s10, v65
	v_mad_u64_u32 v[4:5], null, s10, v64, 0
	s_delay_alu instid0(VALU_DEP_1) | instskip(NEXT) | instid1(VALU_DEP_1)
	v_add3_u32 v5, v5, v7, v6
	v_lshlrev_b64 v[3:4], 4, v[4:5]
	s_delay_alu instid0(VALU_DEP_1) | instskip(NEXT) | instid1(VALU_DEP_1)
	v_add_co_u32 v2, s0, s4, v3
	v_add_co_ci_u32_e64 v3, s0, s5, v4, s0
	v_or_b32_e32 v4, 0x3c00, v60
	s_delay_alu instid0(VALU_DEP_3) | instskip(NEXT) | instid1(VALU_DEP_1)
	v_add_co_u32 v0, s0, v2, v0
	v_add_co_ci_u32_e64 v1, s0, v3, v1, s0
	v_or_b32_e32 v2, 0x7800, v60
	s_delay_alu instid0(VALU_DEP_3) | instskip(NEXT) | instid1(VALU_DEP_1)
	v_add_co_u32 v58, s0, v0, v60
	v_add_co_ci_u32_e64 v59, s0, 0, v1, s0
	v_add_co_u32 v70, s0, v0, v4
	s_delay_alu instid0(VALU_DEP_1) | instskip(SKIP_1) | instid1(VALU_DEP_1)
	v_add_co_ci_u32_e64 v71, s0, 0, v1, s0
	v_add_co_u32 v134, s0, v0, v2
	v_add_co_ci_u32_e64 v135, s0, 0, v1, s0
	v_add_co_u32 v30, s0, 0x1000, v58
	s_delay_alu instid0(VALU_DEP_1) | instskip(SKIP_1) | instid1(VALU_DEP_1)
	v_add_co_ci_u32_e64 v31, s0, 0, v59, s0
	;; [unrolled: 5-line block ×5, first 2 shown]
	v_add_co_u32 v150, s0, 0x8000, v58
	v_add_co_ci_u32_e64 v151, s0, 0, v59, s0
	s_clause 0x1f
	global_load_b128 v[2:5], v[58:59], off offset:960
	global_load_b128 v[6:9], v[58:59], off offset:1920
	;; [unrolled: 1-line block ×15, first 2 shown]
	global_load_b128 v[70:73], v[70:71], off
	global_load_b128 v[74:77], v[74:75], off offset:4032
	global_load_b128 v[78:81], v[90:91], off offset:896
	;; [unrolled: 1-line block ×15, first 2 shown]
	global_load_b128 v[134:137], v[134:135], off
	s_clause 0x3
	global_load_b128 v[138:141], v[142:143], off offset:3008
	global_load_b128 v[142:145], v[142:143], off offset:3968
	global_load_b128 v[146:149], v[58:59], off
	global_load_b128 v[150:153], v[150:151], off offset:832
	v_add_nc_u32_e32 v58, 0, v60
	v_cmp_eq_u32_e64 s0, 59, v253
	s_waitcnt vmcnt(35)
	ds_store_b128 v58, v[2:5] offset:960
	s_waitcnt vmcnt(34)
	ds_store_b128 v58, v[6:9] offset:1920
	;; [unrolled: 2-line block ×34, first 2 shown]
	s_waitcnt vmcnt(1)
	ds_store_b128 v58, v[146:149]
	s_waitcnt vmcnt(0)
	ds_store_b128 v58, v[150:153] offset:33600
	s_and_saveexec_b32 s4, s0
	s_cbranch_execz .LBB0_14
; %bb.13:
	v_add_co_u32 v0, s0, 0x8000, v0
	s_delay_alu instid0(VALU_DEP_1)
	v_add_co_ci_u32_e64 v1, s0, 0, v1, s0
	v_dual_mov_b32 v4, 0 :: v_dual_mov_b32 v253, 59
	global_load_b128 v[0:3], v[0:1], off offset:1792
	s_waitcnt vmcnt(0)
	ds_store_b128 v4, v[0:3] offset:34560
.LBB0_14:
	s_or_b32 exec_lo, exec_lo, s4
.LBB0_15:
	s_delay_alu instid0(SALU_CYCLE_1)
	s_or_b32 exec_lo, exec_lo, s1
	v_lshlrev_b32_e32 v0, 4, v253
	s_waitcnt lgkmcnt(0)
	s_barrier
	buffer_gl0_inv
	s_add_u32 s1, s8, 0x8660
	v_add_nc_u32_e32 v210, 0, v0
	v_sub_nc_u32_e32 v10, 0, v0
	s_addc_u32 s4, s9, 0
	s_mov_b32 s5, exec_lo
                                        ; implicit-def: $vgpr4_vgpr5
	ds_load_b64 v[6:7], v210
	ds_load_b64 v[8:9], v10 offset:34560
	s_waitcnt lgkmcnt(0)
	v_add_f64 v[0:1], v[6:7], v[8:9]
	v_add_f64 v[2:3], v[6:7], -v[8:9]
	v_cmpx_ne_u32_e32 0, v253
	s_xor_b32 s5, exec_lo, s5
	s_cbranch_execz .LBB0_17
; %bb.16:
	v_mov_b32_e32 v254, 0
	v_add_f64 v[13:14], v[6:7], v[8:9]
	v_add_f64 v[15:16], v[6:7], -v[8:9]
	s_delay_alu instid0(VALU_DEP_3) | instskip(NEXT) | instid1(VALU_DEP_1)
	v_lshlrev_b64 v[0:1], 4, v[253:254]
	v_add_co_u32 v0, s0, s1, v0
	s_delay_alu instid0(VALU_DEP_1)
	v_add_co_ci_u32_e64 v1, s0, s4, v1, s0
	global_load_b128 v[2:5], v[0:1], off
	ds_load_b64 v[0:1], v10 offset:34568
	ds_load_b64 v[11:12], v210 offset:8
	s_waitcnt lgkmcnt(0)
	v_add_f64 v[6:7], v[0:1], v[11:12]
	v_add_f64 v[0:1], v[11:12], -v[0:1]
	s_waitcnt vmcnt(0)
	v_fma_f64 v[8:9], v[15:16], v[4:5], v[13:14]
	v_fma_f64 v[11:12], -v[15:16], v[4:5], v[13:14]
	s_delay_alu instid0(VALU_DEP_3) | instskip(SKIP_1) | instid1(VALU_DEP_4)
	v_fma_f64 v[13:14], v[6:7], v[4:5], -v[0:1]
	v_fma_f64 v[4:5], v[6:7], v[4:5], v[0:1]
	v_fma_f64 v[0:1], -v[6:7], v[2:3], v[8:9]
	s_delay_alu instid0(VALU_DEP_4) | instskip(NEXT) | instid1(VALU_DEP_4)
	v_fma_f64 v[6:7], v[6:7], v[2:3], v[11:12]
	v_fma_f64 v[8:9], v[15:16], v[2:3], v[13:14]
	s_delay_alu instid0(VALU_DEP_4)
	v_fma_f64 v[2:3], v[15:16], v[2:3], v[4:5]
	v_dual_mov_b32 v4, v253 :: v_dual_mov_b32 v5, v254
	ds_store_b128 v10, v[6:9] offset:34560
.LBB0_17:
	s_and_not1_saveexec_b32 s0, s5
	s_cbranch_execz .LBB0_19
; %bb.18:
	v_mov_b32_e32 v8, 0
	ds_load_b128 v[4:7], v8 offset:17280
	s_waitcnt lgkmcnt(0)
	v_add_f64 v[11:12], v[4:5], v[4:5]
	v_mul_f64 v[13:14], v[6:7], -2.0
	v_mov_b32_e32 v4, 0
	v_mov_b32_e32 v5, 0
	ds_store_b128 v8, v[11:14] offset:17280
.LBB0_19:
	s_or_b32 exec_lo, exec_lo, s0
	v_lshlrev_b64 v[4:5], 4, v[4:5]
	s_mov_b32 s16, 0x134454ff
	s_mov_b32 s17, 0xbfee6f0e
	;; [unrolled: 1-line block ×5, first 2 shown]
	v_add_co_u32 v4, s0, s1, v4
	s_delay_alu instid0(VALU_DEP_1)
	v_add_co_ci_u32_e64 v5, s0, s4, v5, s0
	s_mov_b32 s19, 0xbfe2cf23
	s_mov_b32 s13, 0x3fe2cf23
	;; [unrolled: 1-line block ×3, first 2 shown]
	s_clause 0x1
	global_load_b128 v[6:9], v[4:5], off offset:960
	global_load_b128 v[11:14], v[4:5], off offset:1920
	ds_store_b128 v210, v[0:3]
	ds_load_b128 v[0:3], v210 offset:960
	ds_load_b128 v[15:18], v10 offset:33600
	global_load_b128 v[19:22], v[4:5], off offset:2880
	s_mov_b32 s14, 0x9b97f4a8
	s_mov_b32 s15, 0x3fe9e377
	;; [unrolled: 1-line block ×5, first 2 shown]
	s_waitcnt lgkmcnt(0)
	v_add_f64 v[23:24], v[0:1], v[15:16]
	v_add_f64 v[25:26], v[17:18], v[2:3]
	v_add_f64 v[27:28], v[0:1], -v[15:16]
	v_add_f64 v[0:1], v[2:3], -v[17:18]
	s_waitcnt vmcnt(2)
	s_delay_alu instid0(VALU_DEP_2) | instskip(NEXT) | instid1(VALU_DEP_2)
	v_fma_f64 v[2:3], v[27:28], v[8:9], v[23:24]
	v_fma_f64 v[15:16], v[25:26], v[8:9], v[0:1]
	v_fma_f64 v[17:18], -v[27:28], v[8:9], v[23:24]
	v_fma_f64 v[8:9], v[25:26], v[8:9], -v[0:1]
	s_delay_alu instid0(VALU_DEP_4) | instskip(NEXT) | instid1(VALU_DEP_4)
	v_fma_f64 v[0:1], -v[25:26], v[6:7], v[2:3]
	v_fma_f64 v[2:3], v[27:28], v[6:7], v[15:16]
	s_delay_alu instid0(VALU_DEP_4) | instskip(NEXT) | instid1(VALU_DEP_4)
	v_fma_f64 v[15:16], v[25:26], v[6:7], v[17:18]
	v_fma_f64 v[17:18], v[27:28], v[6:7], v[8:9]
	ds_store_b128 v210, v[0:3] offset:960
	ds_store_b128 v10, v[15:18] offset:33600
	ds_load_b128 v[0:3], v210 offset:1920
	ds_load_b128 v[6:9], v10 offset:32640
	global_load_b128 v[15:18], v[4:5], off offset:3840
	s_waitcnt lgkmcnt(0)
	v_add_f64 v[23:24], v[0:1], v[6:7]
	v_add_f64 v[25:26], v[8:9], v[2:3]
	v_add_f64 v[27:28], v[0:1], -v[6:7]
	v_add_f64 v[0:1], v[2:3], -v[8:9]
	s_waitcnt vmcnt(2)
	s_delay_alu instid0(VALU_DEP_2) | instskip(NEXT) | instid1(VALU_DEP_2)
	v_fma_f64 v[2:3], v[27:28], v[13:14], v[23:24]
	v_fma_f64 v[6:7], v[25:26], v[13:14], v[0:1]
	v_fma_f64 v[8:9], -v[27:28], v[13:14], v[23:24]
	v_fma_f64 v[13:14], v[25:26], v[13:14], -v[0:1]
	v_add_co_u32 v23, s0, 0x1000, v4
	s_delay_alu instid0(VALU_DEP_1)
	v_add_co_ci_u32_e64 v24, s0, 0, v5, s0
	v_fma_f64 v[0:1], -v[25:26], v[11:12], v[2:3]
	v_fma_f64 v[2:3], v[27:28], v[11:12], v[6:7]
	v_fma_f64 v[6:7], v[25:26], v[11:12], v[8:9]
	;; [unrolled: 1-line block ×3, first 2 shown]
	ds_store_b128 v210, v[0:3] offset:1920
	ds_store_b128 v10, v[6:9] offset:32640
	ds_load_b128 v[0:3], v210 offset:2880
	ds_load_b128 v[6:9], v10 offset:31680
	global_load_b128 v[11:14], v[23:24], off offset:704
	s_waitcnt lgkmcnt(0)
	v_add_f64 v[25:26], v[0:1], v[6:7]
	v_add_f64 v[27:28], v[8:9], v[2:3]
	v_add_f64 v[29:30], v[0:1], -v[6:7]
	v_add_f64 v[0:1], v[2:3], -v[8:9]
	s_waitcnt vmcnt(2)
	s_delay_alu instid0(VALU_DEP_2) | instskip(NEXT) | instid1(VALU_DEP_2)
	v_fma_f64 v[2:3], v[29:30], v[21:22], v[25:26]
	v_fma_f64 v[6:7], v[27:28], v[21:22], v[0:1]
	v_fma_f64 v[8:9], -v[29:30], v[21:22], v[25:26]
	v_fma_f64 v[21:22], v[27:28], v[21:22], -v[0:1]
	s_delay_alu instid0(VALU_DEP_4) | instskip(NEXT) | instid1(VALU_DEP_4)
	v_fma_f64 v[0:1], -v[27:28], v[19:20], v[2:3]
	v_fma_f64 v[2:3], v[29:30], v[19:20], v[6:7]
	s_delay_alu instid0(VALU_DEP_4) | instskip(NEXT) | instid1(VALU_DEP_4)
	v_fma_f64 v[6:7], v[27:28], v[19:20], v[8:9]
	v_fma_f64 v[8:9], v[29:30], v[19:20], v[21:22]
	ds_store_b128 v210, v[0:3] offset:2880
	ds_store_b128 v10, v[6:9] offset:31680
	ds_load_b128 v[0:3], v210 offset:3840
	ds_load_b128 v[6:9], v10 offset:30720
	global_load_b128 v[19:22], v[23:24], off offset:1664
	s_waitcnt lgkmcnt(0)
	v_add_f64 v[25:26], v[0:1], v[6:7]
	v_add_f64 v[27:28], v[8:9], v[2:3]
	v_add_f64 v[29:30], v[0:1], -v[6:7]
	v_add_f64 v[0:1], v[2:3], -v[8:9]
	s_waitcnt vmcnt(2)
	s_delay_alu instid0(VALU_DEP_2) | instskip(NEXT) | instid1(VALU_DEP_2)
	v_fma_f64 v[2:3], v[29:30], v[17:18], v[25:26]
	v_fma_f64 v[6:7], v[27:28], v[17:18], v[0:1]
	v_fma_f64 v[8:9], -v[29:30], v[17:18], v[25:26]
	v_fma_f64 v[17:18], v[27:28], v[17:18], -v[0:1]
	s_delay_alu instid0(VALU_DEP_4) | instskip(NEXT) | instid1(VALU_DEP_4)
	v_fma_f64 v[0:1], -v[27:28], v[15:16], v[2:3]
	v_fma_f64 v[2:3], v[29:30], v[15:16], v[6:7]
	s_delay_alu instid0(VALU_DEP_4) | instskip(NEXT) | instid1(VALU_DEP_4)
	v_fma_f64 v[6:7], v[27:28], v[15:16], v[8:9]
	v_fma_f64 v[8:9], v[29:30], v[15:16], v[17:18]
	;; [unrolled: 22-line block ×3, first 2 shown]
	ds_store_b128 v210, v[0:3] offset:4800
	ds_store_b128 v10, v[6:9] offset:29760
	ds_load_b128 v[0:3], v210 offset:5760
	ds_load_b128 v[6:9], v10 offset:28800
	global_load_b128 v[11:14], v[23:24], off offset:3584
	s_waitcnt lgkmcnt(0)
	v_add_f64 v[23:24], v[0:1], v[6:7]
	v_add_f64 v[25:26], v[8:9], v[2:3]
	v_add_f64 v[27:28], v[0:1], -v[6:7]
	v_add_f64 v[0:1], v[2:3], -v[8:9]
	s_waitcnt vmcnt(2)
	s_delay_alu instid0(VALU_DEP_2) | instskip(NEXT) | instid1(VALU_DEP_2)
	v_fma_f64 v[2:3], v[27:28], v[21:22], v[23:24]
	v_fma_f64 v[6:7], v[25:26], v[21:22], v[0:1]
	v_fma_f64 v[8:9], -v[27:28], v[21:22], v[23:24]
	v_fma_f64 v[21:22], v[25:26], v[21:22], -v[0:1]
	v_add_co_u32 v23, s0, 0x2000, v4
	s_delay_alu instid0(VALU_DEP_1)
	v_add_co_ci_u32_e64 v24, s0, 0, v5, s0
	v_fma_f64 v[0:1], -v[25:26], v[19:20], v[2:3]
	v_fma_f64 v[2:3], v[27:28], v[19:20], v[6:7]
	v_fma_f64 v[6:7], v[25:26], v[19:20], v[8:9]
	;; [unrolled: 1-line block ×3, first 2 shown]
	ds_store_b128 v210, v[0:3] offset:5760
	ds_store_b128 v10, v[6:9] offset:28800
	ds_load_b128 v[0:3], v210 offset:6720
	ds_load_b128 v[6:9], v10 offset:27840
	global_load_b128 v[19:22], v[23:24], off offset:448
	s_waitcnt lgkmcnt(0)
	v_add_f64 v[25:26], v[0:1], v[6:7]
	v_add_f64 v[27:28], v[8:9], v[2:3]
	v_add_f64 v[29:30], v[0:1], -v[6:7]
	v_add_f64 v[0:1], v[2:3], -v[8:9]
	s_waitcnt vmcnt(2)
	s_delay_alu instid0(VALU_DEP_2) | instskip(NEXT) | instid1(VALU_DEP_2)
	v_fma_f64 v[2:3], v[29:30], v[17:18], v[25:26]
	v_fma_f64 v[6:7], v[27:28], v[17:18], v[0:1]
	v_fma_f64 v[8:9], -v[29:30], v[17:18], v[25:26]
	v_fma_f64 v[17:18], v[27:28], v[17:18], -v[0:1]
	s_delay_alu instid0(VALU_DEP_4) | instskip(NEXT) | instid1(VALU_DEP_4)
	v_fma_f64 v[0:1], -v[27:28], v[15:16], v[2:3]
	v_fma_f64 v[2:3], v[29:30], v[15:16], v[6:7]
	s_delay_alu instid0(VALU_DEP_4) | instskip(NEXT) | instid1(VALU_DEP_4)
	v_fma_f64 v[6:7], v[27:28], v[15:16], v[8:9]
	v_fma_f64 v[8:9], v[29:30], v[15:16], v[17:18]
	ds_store_b128 v210, v[0:3] offset:6720
	ds_store_b128 v10, v[6:9] offset:27840
	ds_load_b128 v[0:3], v210 offset:7680
	ds_load_b128 v[6:9], v10 offset:26880
	global_load_b128 v[15:18], v[23:24], off offset:1408
	s_waitcnt lgkmcnt(0)
	v_add_f64 v[25:26], v[0:1], v[6:7]
	v_add_f64 v[27:28], v[8:9], v[2:3]
	v_add_f64 v[29:30], v[0:1], -v[6:7]
	v_add_f64 v[0:1], v[2:3], -v[8:9]
	s_waitcnt vmcnt(2)
	s_delay_alu instid0(VALU_DEP_2) | instskip(NEXT) | instid1(VALU_DEP_2)
	v_fma_f64 v[2:3], v[29:30], v[13:14], v[25:26]
	v_fma_f64 v[6:7], v[27:28], v[13:14], v[0:1]
	v_fma_f64 v[8:9], -v[29:30], v[13:14], v[25:26]
	v_fma_f64 v[13:14], v[27:28], v[13:14], -v[0:1]
	s_delay_alu instid0(VALU_DEP_4) | instskip(NEXT) | instid1(VALU_DEP_4)
	v_fma_f64 v[0:1], -v[27:28], v[11:12], v[2:3]
	v_fma_f64 v[2:3], v[29:30], v[11:12], v[6:7]
	s_delay_alu instid0(VALU_DEP_4) | instskip(NEXT) | instid1(VALU_DEP_4)
	v_fma_f64 v[6:7], v[27:28], v[11:12], v[8:9]
	v_fma_f64 v[8:9], v[29:30], v[11:12], v[13:14]
	;; [unrolled: 22-line block ×3, first 2 shown]
	ds_store_b128 v210, v[0:3] offset:8640
	ds_store_b128 v10, v[6:9] offset:25920
	ds_load_b128 v[0:3], v210 offset:9600
	ds_load_b128 v[6:9], v10 offset:24960
	global_load_b128 v[19:22], v[23:24], off offset:3328
	s_waitcnt lgkmcnt(0)
	v_add_f64 v[23:24], v[0:1], v[6:7]
	v_add_f64 v[25:26], v[8:9], v[2:3]
	v_add_f64 v[27:28], v[0:1], -v[6:7]
	v_add_f64 v[0:1], v[2:3], -v[8:9]
	s_waitcnt vmcnt(2)
	s_delay_alu instid0(VALU_DEP_2) | instskip(NEXT) | instid1(VALU_DEP_2)
	v_fma_f64 v[2:3], v[27:28], v[17:18], v[23:24]
	v_fma_f64 v[6:7], v[25:26], v[17:18], v[0:1]
	v_fma_f64 v[8:9], -v[27:28], v[17:18], v[23:24]
	v_fma_f64 v[17:18], v[25:26], v[17:18], -v[0:1]
	v_add_co_u32 v23, s0, 0x3000, v4
	s_delay_alu instid0(VALU_DEP_1)
	v_add_co_ci_u32_e64 v24, s0, 0, v5, s0
	v_fma_f64 v[0:1], -v[25:26], v[15:16], v[2:3]
	v_fma_f64 v[2:3], v[27:28], v[15:16], v[6:7]
	v_fma_f64 v[6:7], v[25:26], v[15:16], v[8:9]
	v_fma_f64 v[8:9], v[27:28], v[15:16], v[17:18]
	ds_store_b128 v210, v[0:3] offset:9600
	ds_store_b128 v10, v[6:9] offset:24960
	ds_load_b128 v[0:3], v210 offset:10560
	ds_load_b128 v[6:9], v10 offset:24000
	global_load_b128 v[15:18], v[23:24], off offset:192
	s_waitcnt lgkmcnt(0)
	v_add_f64 v[4:5], v[0:1], v[6:7]
	v_add_f64 v[25:26], v[8:9], v[2:3]
	v_add_f64 v[6:7], v[0:1], -v[6:7]
	v_add_f64 v[0:1], v[2:3], -v[8:9]
	s_waitcnt vmcnt(2)
	s_delay_alu instid0(VALU_DEP_2) | instskip(NEXT) | instid1(VALU_DEP_2)
	v_fma_f64 v[2:3], v[6:7], v[13:14], v[4:5]
	v_fma_f64 v[8:9], v[25:26], v[13:14], v[0:1]
	v_fma_f64 v[4:5], -v[6:7], v[13:14], v[4:5]
	v_fma_f64 v[13:14], v[25:26], v[13:14], -v[0:1]
	s_delay_alu instid0(VALU_DEP_4) | instskip(NEXT) | instid1(VALU_DEP_4)
	v_fma_f64 v[0:1], -v[25:26], v[11:12], v[2:3]
	v_fma_f64 v[2:3], v[6:7], v[11:12], v[8:9]
	s_delay_alu instid0(VALU_DEP_4) | instskip(NEXT) | instid1(VALU_DEP_4)
	v_fma_f64 v[4:5], v[25:26], v[11:12], v[4:5]
	v_fma_f64 v[6:7], v[6:7], v[11:12], v[13:14]
	ds_store_b128 v210, v[0:3] offset:10560
	ds_store_b128 v10, v[4:7] offset:24000
	ds_load_b128 v[0:3], v210 offset:11520
	ds_load_b128 v[4:7], v10 offset:23040
	global_load_b128 v[11:14], v[23:24], off offset:1152
	s_waitcnt lgkmcnt(0)
	v_add_f64 v[8:9], v[0:1], v[4:5]
	v_add_f64 v[25:26], v[6:7], v[2:3]
	v_add_f64 v[27:28], v[0:1], -v[4:5]
	v_add_f64 v[0:1], v[2:3], -v[6:7]
	s_waitcnt vmcnt(2)
	s_delay_alu instid0(VALU_DEP_2) | instskip(NEXT) | instid1(VALU_DEP_2)
	v_fma_f64 v[2:3], v[27:28], v[21:22], v[8:9]
	v_fma_f64 v[4:5], v[25:26], v[21:22], v[0:1]
	v_fma_f64 v[6:7], -v[27:28], v[21:22], v[8:9]
	v_fma_f64 v[8:9], v[25:26], v[21:22], -v[0:1]
	s_delay_alu instid0(VALU_DEP_4) | instskip(NEXT) | instid1(VALU_DEP_4)
	v_fma_f64 v[0:1], -v[25:26], v[19:20], v[2:3]
	v_fma_f64 v[2:3], v[27:28], v[19:20], v[4:5]
	s_delay_alu instid0(VALU_DEP_4) | instskip(NEXT) | instid1(VALU_DEP_4)
	v_fma_f64 v[4:5], v[25:26], v[19:20], v[6:7]
	v_fma_f64 v[6:7], v[27:28], v[19:20], v[8:9]
	;; [unrolled: 22-line block ×3, first 2 shown]
	v_or_b32_e32 v8, 0x3c0, v253
	v_mov_b32_e32 v9, 0
	ds_store_b128 v210, v[0:3] offset:12480
	ds_store_b128 v10, v[4:7] offset:22080
	v_lshlrev_b64 v[8:9], 4, v[8:9]
	ds_load_b128 v[0:3], v210 offset:13440
	ds_load_b128 v[4:7], v10 offset:21120
	v_add_co_u32 v8, s0, s1, v8
	s_delay_alu instid0(VALU_DEP_1)
	v_add_co_ci_u32_e64 v9, s0, s4, v9, s0
	s_mov_b32 s4, 0x372fe950
	s_mov_b32 s5, 0x3fd3c6ef
	;; [unrolled: 1-line block ×3, first 2 shown]
	global_load_b128 v[15:18], v[8:9], off
	s_mov_b32 s1, exec_lo
	s_waitcnt lgkmcnt(0)
	v_add_f64 v[8:9], v[0:1], v[4:5]
	v_add_f64 v[25:26], v[6:7], v[2:3]
	v_add_f64 v[27:28], v[0:1], -v[4:5]
	v_add_f64 v[0:1], v[2:3], -v[6:7]
	s_waitcnt vmcnt(2)
	s_delay_alu instid0(VALU_DEP_2) | instskip(NEXT) | instid1(VALU_DEP_2)
	v_fma_f64 v[2:3], v[27:28], v[13:14], v[8:9]
	v_fma_f64 v[4:5], v[25:26], v[13:14], v[0:1]
	v_fma_f64 v[6:7], -v[27:28], v[13:14], v[8:9]
	v_fma_f64 v[8:9], v[25:26], v[13:14], -v[0:1]
	s_delay_alu instid0(VALU_DEP_4) | instskip(NEXT) | instid1(VALU_DEP_4)
	v_fma_f64 v[0:1], -v[25:26], v[11:12], v[2:3]
	v_fma_f64 v[2:3], v[27:28], v[11:12], v[4:5]
	s_delay_alu instid0(VALU_DEP_4) | instskip(NEXT) | instid1(VALU_DEP_4)
	v_fma_f64 v[4:5], v[25:26], v[11:12], v[6:7]
	v_fma_f64 v[6:7], v[27:28], v[11:12], v[8:9]
	ds_store_b128 v210, v[0:3] offset:13440
	ds_store_b128 v10, v[4:7] offset:21120
	ds_load_b128 v[0:3], v210 offset:14400
	ds_load_b128 v[4:7], v10 offset:20160
	global_load_b128 v[11:14], v[23:24], off offset:4032
	s_waitcnt lgkmcnt(0)
	v_add_f64 v[8:9], v[0:1], v[4:5]
	v_add_f64 v[23:24], v[6:7], v[2:3]
	v_add_f64 v[25:26], v[0:1], -v[4:5]
	v_add_f64 v[0:1], v[2:3], -v[6:7]
	s_waitcnt vmcnt(2)
	s_delay_alu instid0(VALU_DEP_2) | instskip(NEXT) | instid1(VALU_DEP_2)
	v_fma_f64 v[2:3], v[25:26], v[21:22], v[8:9]
	v_fma_f64 v[4:5], v[23:24], v[21:22], v[0:1]
	v_fma_f64 v[6:7], -v[25:26], v[21:22], v[8:9]
	v_fma_f64 v[8:9], v[23:24], v[21:22], -v[0:1]
	s_delay_alu instid0(VALU_DEP_4) | instskip(NEXT) | instid1(VALU_DEP_4)
	v_fma_f64 v[0:1], -v[23:24], v[19:20], v[2:3]
	v_fma_f64 v[2:3], v[25:26], v[19:20], v[4:5]
	s_delay_alu instid0(VALU_DEP_4) | instskip(NEXT) | instid1(VALU_DEP_4)
	v_fma_f64 v[4:5], v[23:24], v[19:20], v[6:7]
	v_fma_f64 v[6:7], v[25:26], v[19:20], v[8:9]
	ds_store_b128 v210, v[0:3] offset:14400
	ds_store_b128 v10, v[4:7] offset:20160
	ds_load_b128 v[0:3], v210 offset:15360
	ds_load_b128 v[4:7], v10 offset:19200
	s_waitcnt lgkmcnt(0)
	v_add_f64 v[8:9], v[0:1], v[4:5]
	v_add_f64 v[19:20], v[6:7], v[2:3]
	v_add_f64 v[21:22], v[0:1], -v[4:5]
	v_add_f64 v[0:1], v[2:3], -v[6:7]
	s_waitcnt vmcnt(1)
	s_delay_alu instid0(VALU_DEP_2) | instskip(NEXT) | instid1(VALU_DEP_2)
	v_fma_f64 v[2:3], v[21:22], v[17:18], v[8:9]
	v_fma_f64 v[4:5], v[19:20], v[17:18], v[0:1]
	v_fma_f64 v[6:7], -v[21:22], v[17:18], v[8:9]
	v_fma_f64 v[8:9], v[19:20], v[17:18], -v[0:1]
	s_delay_alu instid0(VALU_DEP_4) | instskip(NEXT) | instid1(VALU_DEP_4)
	v_fma_f64 v[0:1], -v[19:20], v[15:16], v[2:3]
	v_fma_f64 v[2:3], v[21:22], v[15:16], v[4:5]
	s_delay_alu instid0(VALU_DEP_4) | instskip(NEXT) | instid1(VALU_DEP_4)
	v_fma_f64 v[4:5], v[19:20], v[15:16], v[6:7]
	v_fma_f64 v[6:7], v[21:22], v[15:16], v[8:9]
	ds_store_b128 v210, v[0:3] offset:15360
	ds_store_b128 v10, v[4:7] offset:19200
	ds_load_b128 v[0:3], v210 offset:16320
	ds_load_b128 v[4:7], v10 offset:18240
	s_waitcnt lgkmcnt(0)
	v_add_f64 v[8:9], v[0:1], v[4:5]
	v_add_f64 v[15:16], v[6:7], v[2:3]
	v_add_f64 v[17:18], v[0:1], -v[4:5]
	v_add_f64 v[0:1], v[2:3], -v[6:7]
	s_waitcnt vmcnt(0)
	s_delay_alu instid0(VALU_DEP_2) | instskip(NEXT) | instid1(VALU_DEP_2)
	v_fma_f64 v[2:3], v[17:18], v[13:14], v[8:9]
	v_fma_f64 v[4:5], v[15:16], v[13:14], v[0:1]
	v_fma_f64 v[6:7], -v[17:18], v[13:14], v[8:9]
	v_fma_f64 v[8:9], v[15:16], v[13:14], -v[0:1]
	s_delay_alu instid0(VALU_DEP_4) | instskip(NEXT) | instid1(VALU_DEP_4)
	v_fma_f64 v[0:1], -v[15:16], v[11:12], v[2:3]
	v_fma_f64 v[2:3], v[17:18], v[11:12], v[4:5]
	s_delay_alu instid0(VALU_DEP_4) | instskip(NEXT) | instid1(VALU_DEP_4)
	v_fma_f64 v[4:5], v[15:16], v[11:12], v[6:7]
	v_fma_f64 v[6:7], v[17:18], v[11:12], v[8:9]
	ds_store_b128 v210, v[0:3] offset:16320
	ds_store_b128 v10, v[4:7] offset:18240
	s_waitcnt lgkmcnt(0)
	s_barrier
	buffer_gl0_inv
	s_barrier
	buffer_gl0_inv
	ds_load_b128 v[8:11], v210 offset:6912
	ds_load_b128 v[0:3], v210
	ds_load_b128 v[4:7], v210 offset:960
	ds_load_b128 v[12:15], v210 offset:7872
	;; [unrolled: 1-line block ×6, first 2 shown]
	s_waitcnt lgkmcnt(6)
	v_add_f64 v[28:29], v[0:1], v[8:9]
	s_waitcnt lgkmcnt(3)
	v_add_f64 v[36:37], v[8:9], -v[16:17]
	s_waitcnt lgkmcnt(2)
	v_add_f64 v[202:203], v[16:17], v[20:21]
	v_add_f64 v[68:69], v[16:17], -v[20:21]
	v_add_f64 v[30:31], v[2:3], v[10:11]
	v_add_f64 v[106:107], v[18:19], -v[22:23]
	v_add_f64 v[233:234], v[18:19], v[22:23]
	s_waitcnt lgkmcnt(0)
	v_add_f64 v[198:199], v[24:25], v[32:33]
	v_add_f64 v[166:167], v[26:27], -v[34:35]
	v_add_f64 v[108:109], v[26:27], v[34:35]
	v_add_f64 v[160:161], v[24:25], -v[32:33]
	v_add_f64 v[28:29], v[28:29], v[16:17]
	scratch_store_b64 off, v[36:37], off offset:16 ; 8-byte Folded Spill
	v_add_f64 v[36:37], v[16:17], -v[8:9]
	v_add_f64 v[16:17], v[10:11], -v[18:19]
	v_add_f64 v[30:31], v[30:31], v[18:19]
	scratch_store_b64 off, v[16:17], off offset:24 ; 8-byte Folded Spill
	v_add_f64 v[16:17], v[18:19], -v[10:11]
	s_clause 0x1
	scratch_store_b64 off, v[36:37], off
	scratch_store_b64 off, v[16:17], off offset:8
	ds_load_b128 v[16:19], v210 offset:27648
	ds_load_b128 v[36:39], v210 offset:28608
	s_waitcnt lgkmcnt(1)
	v_add_f64 v[144:145], v[8:9], v[16:17]
	v_add_f64 v[72:73], v[8:9], -v[16:17]
	v_add_f64 v[8:9], v[28:29], v[20:21]
	v_add_f64 v[28:29], v[16:17], -v[20:21]
	v_add_f64 v[20:21], v[20:21], -v[16:17]
	;; [unrolled: 1-line block ×3, first 2 shown]
	v_add_f64 v[146:147], v[10:11], v[18:19]
	v_add_f64 v[10:11], v[30:31], v[22:23]
	s_waitcnt lgkmcnt(0)
	v_add_f64 v[92:93], v[12:13], v[36:37]
	v_add_f64 v[156:157], v[12:13], -v[36:37]
	v_add_f64 v[140:141], v[38:39], -v[34:35]
	;; [unrolled: 1-line block ×3, first 2 shown]
	v_add_f64 v[94:95], v[14:15], v[38:39]
	v_add_f64 v[134:135], v[8:9], v[16:17]
	s_clause 0x1
	scratch_store_b64 off, v[28:29], off offset:64
	scratch_store_b64 off, v[20:21], off offset:32
	v_add_f64 v[20:21], v[18:19], -v[22:23]
	v_fma_f64 v[146:147], v[146:147], -0.5, v[2:3]
	v_add_f64 v[124:125], v[10:11], v[18:19]
	scratch_store_b64 off, v[20:21], off offset:72 ; 8-byte Folded Spill
	v_add_f64 v[20:21], v[22:23], -v[18:19]
	scratch_store_b64 off, v[20:21], off offset:40 ; 8-byte Folded Spill
	ds_load_b128 v[8:11], v210 offset:10368
	ds_load_b128 v[28:31], v210 offset:3456
	;; [unrolled: 1-line block ×6, first 2 shown]
	s_waitcnt lgkmcnt(4)
	v_add_f64 v[48:49], v[28:29], v[8:9]
	s_waitcnt lgkmcnt(1)
	v_add_f64 v[162:163], v[8:9], -v[20:21]
	v_add_f64 v[150:151], v[20:21], -v[8:9]
	v_add_f64 v[164:165], v[10:11], -v[22:23]
	v_add_f64 v[152:153], v[22:23], -v[10:11]
	s_waitcnt lgkmcnt(0)
	v_add_f64 v[138:139], v[18:19], -v[46:47]
	v_add_f64 v[78:79], v[48:49], v[20:21]
	v_add_f64 v[48:49], v[30:31], v[10:11]
	s_delay_alu instid0(VALU_DEP_1)
	v_add_f64 v[80:81], v[48:49], v[22:23]
	ds_load_b128 v[48:51], v210 offset:24192
	ds_load_b128 v[52:55], v210 offset:25152
	s_waitcnt lgkmcnt(1)
	v_add_f64 v[170:171], v[20:21], v[48:49]
	v_add_f64 v[66:67], v[22:23], -v[50:51]
	v_add_f64 v[172:173], v[22:23], v[50:51]
	v_add_f64 v[104:105], v[20:21], -v[48:49]
	ds_load_b128 v[20:23], v210 offset:31104
	ds_load_b128 v[56:59], v210 offset:32064
	s_waitcnt lgkmcnt(2)
	v_add_f64 v[88:89], v[44:45], v[52:53]
	v_add_f64 v[84:85], v[46:47], -v[54:55]
	v_add_f64 v[86:87], v[46:47], v[54:55]
	v_add_f64 v[82:83], v[44:45], -v[52:53]
	s_waitcnt lgkmcnt(1)
	v_add_f64 v[188:189], v[8:9], v[20:21]
	v_add_f64 v[136:137], v[8:9], -v[20:21]
	v_add_f64 v[8:9], v[78:79], v[48:49]
	v_add_f64 v[174:175], v[20:21], -v[48:49]
	v_add_f64 v[116:117], v[48:49], -v[20:21]
	;; [unrolled: 1-line block ×3, first 2 shown]
	v_add_f64 v[208:209], v[10:11], v[22:23]
	v_add_f64 v[10:11], v[80:81], v[50:51]
	v_add_f64 v[176:177], v[22:23], -v[50:51]
	v_add_f64 v[168:169], v[50:51], -v[22:23]
	s_waitcnt lgkmcnt(0)
	v_add_f64 v[80:81], v[18:19], -v[58:59]
	v_add_f64 v[74:75], v[16:17], v[56:57]
	v_add_f64 v[78:79], v[16:17], -v[56:57]
	v_add_f64 v[76:77], v[18:19], v[58:59]
	v_add_f64 v[128:129], v[56:57], -v[52:53]
	v_add_f64 v[118:119], v[58:59], -v[54:55]
	v_fma_f64 v[170:171], v[170:171], -0.5, v[28:29]
	v_fma_f64 v[172:173], v[172:173], -0.5, v[30:31]
	;; [unrolled: 1-line block ×5, first 2 shown]
	v_add_f64 v[126:127], v[8:9], v[20:21]
	v_add_f64 v[20:21], v[12:13], -v[24:25]
	v_add_f64 v[8:9], v[4:5], v[12:13]
	v_add_f64 v[116:117], v[150:151], v[116:117]
	v_fma_f64 v[30:31], v[208:209], -0.5, v[30:31]
	v_add_f64 v[180:181], v[10:11], v[22:23]
	v_add_f64 v[10:11], v[6:7], v[14:15]
	v_fma_f64 v[208:209], v[198:199], -0.5, v[4:5]
	v_fma_f64 v[198:199], v[108:109], -0.5, v[6:7]
	;; [unrolled: 1-line block ×3, first 2 shown]
	v_add_f64 v[150:151], v[152:153], v[168:169]
	scratch_store_b64 off, v[20:21], off offset:104 ; 8-byte Folded Spill
	v_add_f64 v[20:21], v[24:25], -v[12:13]
	v_add_f64 v[12:13], v[36:37], -v[32:33]
	v_add_f64 v[8:9], v[8:9], v[24:25]
	v_add_f64 v[10:11], v[10:11], v[26:27]
	scratch_store_b64 off, v[12:13], off offset:136 ; 8-byte Folded Spill
	v_add_f64 v[12:13], v[32:33], -v[36:37]
	scratch_store_b64 off, v[20:21], off offset:48 ; 8-byte Folded Spill
	v_add_f64 v[20:21], v[14:15], -v[26:27]
	v_add_f64 v[8:9], v[8:9], v[32:33]
	v_add_f64 v[10:11], v[10:11], v[34:35]
	v_fma_f64 v[32:33], v[76:77], -0.5, v[42:43]
	scratch_store_b64 off, v[12:13], off offset:80 ; 8-byte Folded Spill
	v_add_f64 v[12:13], v[34:35], -v[38:39]
	scratch_store_b64 off, v[20:21], off offset:120 ; 8-byte Folded Spill
	v_add_f64 v[20:21], v[26:27], -v[14:15]
	v_add_f64 v[186:187], v[8:9], v[36:37]
	v_add_f64 v[112:113], v[10:11], v[38:39]
	;; [unrolled: 1-line block ×4, first 2 shown]
	v_add_f64 v[34:35], v[16:17], -v[44:45]
	scratch_store_b64 off, v[12:13], off offset:88 ; 8-byte Folded Spill
	v_add_f64 v[12:13], v[44:45], -v[16:17]
	scratch_store_b64 off, v[20:21], off offset:56 ; 8-byte Folded Spill
	v_add_f64 v[8:9], v[8:9], v[44:45]
	v_add_f64 v[10:11], v[10:11], v[46:47]
	;; [unrolled: 1-line block ×3, first 2 shown]
	scratch_store_b64 off, v[12:13], off offset:96 ; 8-byte Folded Spill
	v_add_f64 v[12:13], v[46:47], -v[18:19]
	v_add_f64 v[8:9], v[8:9], v[52:53]
	v_add_f64 v[10:11], v[10:11], v[54:55]
	scratch_store_b64 off, v[12:13], off offset:112 ; 8-byte Folded Spill
	v_add_f64 v[12:13], v[52:53], -v[56:57]
	v_add_f64 v[114:115], v[8:9], v[56:57]
	v_add_f64 v[110:111], v[10:11], v[58:59]
	scratch_store_b64 off, v[12:13], off offset:128 ; 8-byte Folded Spill
	v_add_f64 v[12:13], v[54:55], -v[58:59]
	v_add_f64 v[42:43], v[112:113], v[110:111]
	scratch_store_b64 off, v[12:13], off offset:144 ; 8-byte Folded Spill
	ds_load_b128 v[20:23], v210 offset:8832
	ds_load_b128 v[56:59], v210 offset:1920
	;; [unrolled: 1-line block ×6, first 2 shown]
	s_waitcnt lgkmcnt(4)
	v_add_f64 v[12:13], v[56:57], v[20:21]
	s_waitcnt lgkmcnt(1)
	v_add_f64 v[231:232], v[20:21], -v[8:9]
	v_add_f64 v[154:155], v[8:9], -v[20:21]
	;; [unrolled: 1-line block ×4, first 2 shown]
	v_add_f64 v[48:49], v[12:13], v[8:9]
	v_add_f64 v[12:13], v[58:59], v[22:23]
	s_delay_alu instid0(VALU_DEP_1)
	v_add_f64 v[50:51], v[12:13], v[10:11]
	ds_load_b128 v[36:39], v210 offset:22656
	ds_load_b128 v[12:15], v210 offset:23616
	s_waitcnt lgkmcnt(1)
	v_add_f64 v[227:228], v[8:9], v[36:37]
	v_add_f64 v[229:230], v[10:11], -v[38:39]
	v_add_f64 v[235:236], v[10:11], v[38:39]
	v_add_f64 v[237:238], v[8:9], -v[36:37]
	ds_load_b128 v[44:47], v210 offset:29568
	ds_load_b128 v[8:11], v210 offset:30528
	s_waitcnt lgkmcnt(1)
	v_add_f64 v[243:244], v[22:23], -v[46:47]
	v_add_f64 v[245:246], v[20:21], v[44:45]
	v_add_f64 v[247:248], v[20:21], -v[44:45]
	v_add_f64 v[249:250], v[22:23], v[46:47]
	v_add_f64 v[20:21], v[48:49], v[36:37]
	;; [unrolled: 1-line block ×3, first 2 shown]
	ds_load_b128 v[211:214], v210 offset:12288
	ds_load_b128 v[215:218], v210 offset:5376
	;; [unrolled: 1-line block ×4, first 2 shown]
	v_add_f64 v[251:252], v[44:45], -v[36:37]
	v_add_f64 v[254:255], v[36:37], -v[44:45]
	;; [unrolled: 1-line block ×4, first 2 shown]
	v_fma_f64 v[227:228], v[227:228], -0.5, v[56:57]
	v_fma_f64 v[235:236], v[235:236], -0.5, v[58:59]
	s_waitcnt lgkmcnt(2)
	v_add_f64 v[36:37], v[215:216], v[211:212]
	v_fma_f64 v[245:246], v[245:246], -0.5, v[56:57]
	v_add_f64 v[56:57], v[186:187], -v[114:115]
	v_fma_f64 v[249:250], v[249:250], -0.5, v[58:59]
	v_add_f64 v[60:61], v[20:21], v[44:45]
	v_add_f64 v[182:183], v[22:23], v[46:47]
	ds_load_b128 v[20:23], v210 offset:19200
	ds_load_b128 v[44:47], v210 offset:20160
	v_add_f64 v[58:59], v[112:113], -v[110:111]
	v_add_f64 v[110:111], v[162:163], v[174:175]
	s_waitcnt lgkmcnt(1)
	v_add_f64 v[184:185], v[36:37], v[20:21]
	v_add_f64 v[36:37], v[217:218], v[213:214]
	v_add_f64 v[100:101], v[211:212], -v[20:21]
	v_add_f64 v[178:179], v[20:21], -v[211:212]
	;; [unrolled: 1-line block ×4, first 2 shown]
	v_add_f64 v[190:191], v[36:37], v[22:23]
	ds_load_b128 v[219:222], v210 offset:26112
	ds_load_b128 v[36:39], v210 offset:27072
	s_waitcnt lgkmcnt(1)
	v_add_f64 v[184:185], v[184:185], v[219:220]
	v_add_f64 v[192:193], v[20:21], v[219:220]
	v_add_f64 v[194:195], v[22:23], -v[221:222]
	v_add_f64 v[196:197], v[22:23], v[221:222]
	v_add_f64 v[200:201], v[20:21], -v[219:220]
	ds_load_b128 v[223:226], v210 offset:33024
	ds_load_b128 v[20:23], v210 offset:33984
	v_add_f64 v[190:191], v[190:191], v[221:222]
	s_waitcnt lgkmcnt(1)
	v_add_f64 v[206:207], v[211:212], v[223:224]
	v_add_f64 v[204:205], v[213:214], -v[225:226]
	v_add_f64 v[213:214], v[213:214], v[225:226]
	v_add_f64 v[90:91], v[225:226], -v[221:222]
	v_add_f64 v[221:222], v[221:222], -v[225:226]
	v_add_f64 v[211:212], v[211:212], -v[223:224]
	v_add_f64 v[96:97], v[223:224], -v[219:220]
	v_add_f64 v[219:220], v[219:220], -v[223:224]
	v_add_f64 v[184:185], v[184:185], v[223:224]
	v_fma_f64 v[192:193], v[192:193], -0.5, v[215:216]
	v_fma_f64 v[223:224], v[202:203], -0.5, v[0:1]
	;; [unrolled: 1-line block ×4, first 2 shown]
	v_add_f64 v[190:191], v[190:191], v[225:226]
	v_fma_f64 v[225:226], v[144:145], -0.5, v[0:1]
	v_fma_f64 v[144:145], v[233:234], -0.5, v[2:3]
	;; [unrolled: 1-line block ×3, first 2 shown]
	v_add_f64 v[3:4], v[124:125], v[180:181]
	v_add_f64 v[1:2], v[134:135], v[126:127]
	v_fma_f64 v[206:207], v[206:207], -0.5, v[215:216]
	v_add_f64 v[215:216], v[124:125], -v[180:181]
	v_fma_f64 v[217:218], v[213:214], -0.5, v[217:218]
	v_add_f64 v[213:214], v[134:135], -v[126:127]
	v_add_f64 v[134:135], v[164:165], v[176:177]
	v_add_f64 v[40:41], v[186:187], v[114:115]
	;; [unrolled: 1-line block ×3, first 2 shown]
	v_mul_u32_u24_e32 v0, 10, v253
	s_delay_alu instid0(VALU_DEP_1)
	v_lshl_add_u32 v0, v0, 4, 0
	v_add_f64 v[124:125], v[60:61], v[184:185]
	v_add_f64 v[184:185], v[60:61], -v[184:185]
	s_clause 0x1
	scratch_load_b64 v[60:61], off, off offset:16
	scratch_load_b64 v[74:75], off, off offset:64
	v_add_f64 v[126:127], v[182:183], v[190:191]
	v_add_f64 v[186:187], v[182:183], -v[190:191]
	s_waitcnt vmcnt(0)
	v_add_f64 v[60:61], v[60:61], v[74:75]
	s_clause 0x1
	scratch_load_b64 v[74:75], off, off offset:24
	scratch_load_b64 v[76:77], off, off offset:72
	s_waitcnt vmcnt(0)
	v_add_f64 v[108:109], v[74:75], v[76:77]
	v_fma_f64 v[74:75], v[136:137], s[10:11], v[172:173]
	v_fma_f64 v[76:77], v[130:131], s[16:17], v[170:171]
	s_delay_alu instid0(VALU_DEP_2) | instskip(NEXT) | instid1(VALU_DEP_2)
	v_fma_f64 v[74:75], v[104:105], s[12:13], v[74:75]
	v_fma_f64 v[76:77], v[66:67], s[18:19], v[76:77]
	s_delay_alu instid0(VALU_DEP_2) | instskip(NEXT) | instid1(VALU_DEP_2)
	v_fma_f64 v[74:75], v[134:135], s[4:5], v[74:75]
	v_fma_f64 v[76:77], v[110:111], s[4:5], v[76:77]
	s_delay_alu instid0(VALU_DEP_2) | instskip(NEXT) | instid1(VALU_DEP_1)
	v_mul_f64 v[86:87], v[74:75], s[18:19]
	v_fma_f64 v[92:93], v[76:77], s[14:15], v[86:87]
	v_mul_f64 v[76:77], v[76:77], s[12:13]
	v_fma_f64 v[86:87], v[72:73], s[10:11], v[144:145]
	s_delay_alu instid0(VALU_DEP_2) | instskip(SKIP_1) | instid1(VALU_DEP_3)
	v_fma_f64 v[74:75], v[74:75], s[14:15], v[76:77]
	v_fma_f64 v[76:77], v[70:71], s[16:17], v[223:224]
	;; [unrolled: 1-line block ×3, first 2 shown]
	s_delay_alu instid0(VALU_DEP_2) | instskip(NEXT) | instid1(VALU_DEP_2)
	v_fma_f64 v[76:77], v[106:107], s[18:19], v[76:77]
	v_fma_f64 v[94:95], v[108:109], s[4:5], v[86:87]
	s_delay_alu instid0(VALU_DEP_2) | instskip(NEXT) | instid1(VALU_DEP_2)
	v_fma_f64 v[76:77], v[60:61], s[4:5], v[76:77]
	v_add_f64 v[88:89], v[94:95], v[74:75]
	v_add_f64 v[114:115], v[94:95], -v[74:75]
	s_delay_alu instid0(VALU_DEP_3)
	v_add_f64 v[86:87], v[76:77], v[92:93]
	v_add_f64 v[112:113], v[76:77], -v[92:93]
	s_clause 0x1
	scratch_load_b64 v[74:75], off, off
	scratch_load_b64 v[76:77], off, off offset:32
	s_waitcnt vmcnt(0)
	v_add_f64 v[162:163], v[74:75], v[76:77]
	s_clause 0x1
	scratch_load_b64 v[74:75], off, off offset:8
	scratch_load_b64 v[76:77], off, off offset:40
	s_waitcnt vmcnt(0)
	v_add_f64 v[164:165], v[74:75], v[76:77]
	v_fma_f64 v[74:75], v[104:105], s[16:17], v[30:31]
	v_fma_f64 v[76:77], v[66:67], s[10:11], v[28:29]
	;; [unrolled: 1-line block ×4, first 2 shown]
	s_delay_alu instid0(VALU_DEP_4) | instskip(NEXT) | instid1(VALU_DEP_4)
	v_fma_f64 v[74:75], v[136:137], s[12:13], v[74:75]
	v_fma_f64 v[76:77], v[130:131], s[18:19], v[76:77]
	s_delay_alu instid0(VALU_DEP_4) | instskip(NEXT) | instid1(VALU_DEP_4)
	v_fma_f64 v[30:31], v[136:137], s[18:19], v[30:31]
	v_fma_f64 v[28:29], v[130:131], s[12:13], v[28:29]
	;; [unrolled: 3-line block ×4, first 2 shown]
	s_delay_alu instid0(VALU_DEP_4) | instskip(SKIP_1) | instid1(VALU_DEP_4)
	v_mul_f64 v[92:93], v[74:75], s[16:17]
	v_mul_f64 v[74:75], v[74:75], s[4:5]
	;; [unrolled: 1-line block ×4, first 2 shown]
	s_delay_alu instid0(VALU_DEP_4) | instskip(NEXT) | instid1(VALU_DEP_4)
	v_fma_f64 v[92:93], v[76:77], s[4:5], v[92:93]
	v_fma_f64 v[94:95], v[76:77], s[10:11], v[74:75]
	;; [unrolled: 1-line block ×11, first 2 shown]
	s_delay_alu instid0(VALU_DEP_4) | instskip(NEXT) | instid1(VALU_DEP_4)
	v_fma_f64 v[30:31], v[106:107], s[12:13], v[30:31]
	v_fma_f64 v[152:153], v[162:163], s[4:5], v[74:75]
	s_delay_alu instid0(VALU_DEP_4) | instskip(NEXT) | instid1(VALU_DEP_4)
	v_fma_f64 v[168:169], v[164:165], s[4:5], v[76:77]
	v_fma_f64 v[146:147], v[164:165], s[4:5], v[146:147]
	s_delay_alu instid0(VALU_DEP_4) | instskip(NEXT) | instid1(VALU_DEP_4)
	v_fma_f64 v[30:31], v[60:61], s[4:5], v[30:31]
	v_add_f64 v[74:75], v[152:153], v[92:93]
	v_add_f64 v[92:93], v[152:153], -v[92:93]
	v_fma_f64 v[152:153], v[106:107], s[16:17], v[225:226]
	v_add_f64 v[164:165], v[146:147], -v[28:29]
	v_fma_f64 v[106:107], v[80:81], s[16:17], v[202:203]
	v_add_f64 v[76:77], v[168:169], v[94:95]
	v_add_f64 v[94:95], v[168:169], -v[94:95]
	v_fma_f64 v[152:153], v[70:71], s[12:13], v[152:153]
	v_fma_f64 v[70:71], v[72:73], s[16:17], v[144:145]
	;; [unrolled: 1-line block ×4, first 2 shown]
	s_delay_alu instid0(VALU_DEP_4)
	v_fma_f64 v[162:163], v[162:163], s[4:5], v[152:153]
	v_add_f64 v[152:153], v[146:147], v[28:29]
	v_fma_f64 v[28:29], v[136:137], s[16:17], v[172:173]
	v_fma_f64 v[68:69], v[68:69], s[18:19], v[70:71]
	;; [unrolled: 1-line block ×4, first 2 shown]
	v_add_f64 v[150:151], v[162:163], v[116:117]
	v_add_f64 v[162:163], v[162:163], -v[116:117]
	v_fma_f64 v[28:29], v[104:105], s[18:19], v[28:29]
	v_fma_f64 v[60:61], v[108:109], s[4:5], v[68:69]
	;; [unrolled: 1-line block ×6, first 2 shown]
	s_delay_alu instid0(VALU_DEP_3) | instskip(NEXT) | instid1(VALU_DEP_3)
	v_fma_f64 v[104:105], v[82:83], s[12:13], v[104:105]
	v_fma_f64 v[110:111], v[160:161], s[12:13], v[110:111]
	s_delay_alu instid0(VALU_DEP_3) | instskip(SKIP_1) | instid1(VALU_DEP_2)
	v_mul_f64 v[68:69], v[28:29], s[18:19]
	v_mul_f64 v[28:29], v[28:29], s[22:23]
	v_fma_f64 v[70:71], v[66:67], s[22:23], v[68:69]
	s_delay_alu instid0(VALU_DEP_2) | instskip(NEXT) | instid1(VALU_DEP_2)
	v_fma_f64 v[28:29], v[66:67], s[12:13], v[28:29]
	v_add_f64 v[66:67], v[30:31], v[70:71]
	s_delay_alu instid0(VALU_DEP_2)
	v_add_f64 v[68:69], v[60:61], v[28:29]
	v_add_f64 v[70:71], v[30:31], -v[70:71]
	v_add_f64 v[72:73], v[60:61], -v[28:29]
	s_clause 0x1
	scratch_load_b64 v[28:29], off, off offset:104
	scratch_load_b64 v[30:31], off, off offset:136
	v_add_f64 v[60:61], v[138:139], v[118:119]
	s_delay_alu instid0(VALU_DEP_1) | instskip(NEXT) | instid1(VALU_DEP_1)
	v_fma_f64 v[104:105], v[60:61], s[4:5], v[104:105]
	v_mul_f64 v[108:109], v[104:105], s[18:19]
	s_delay_alu instid0(VALU_DEP_1) | instskip(SKIP_1) | instid1(VALU_DEP_1)
	v_fma_f64 v[108:109], v[106:107], s[14:15], v[108:109]
	v_mul_f64 v[106:107], v[106:107], s[12:13]
	v_fma_f64 v[104:105], v[104:105], s[14:15], v[106:107]
	v_fma_f64 v[106:107], v[158:159], s[16:17], v[208:209]
	s_delay_alu instid0(VALU_DEP_1) | instskip(SKIP_4) | instid1(VALU_DEP_1)
	v_fma_f64 v[106:107], v[166:167], s[18:19], v[106:107]
	s_waitcnt vmcnt(0)
	v_add_f64 v[28:29], v[28:29], v[30:31]
	scratch_load_b64 v[30:31], off, off offset:120 ; 8-byte Folded Reload
	v_fma_f64 v[106:107], v[28:29], s[4:5], v[106:107]
	v_add_f64 v[128:129], v[106:107], v[108:109]
	v_add_f64 v[134:135], v[106:107], -v[108:109]
	s_waitcnt vmcnt(0)
	v_add_f64 v[30:31], v[30:31], v[140:141]
	s_delay_alu instid0(VALU_DEP_1) | instskip(NEXT) | instid1(VALU_DEP_1)
	v_fma_f64 v[110:111], v[30:31], s[4:5], v[110:111]
	v_add_f64 v[130:131], v[110:111], v[104:105]
	v_add_f64 v[136:137], v[110:111], -v[104:105]
	s_clause 0x1
	scratch_load_b64 v[104:105], off, off offset:48
	scratch_load_b64 v[106:107], off, off offset:80
	s_waitcnt vmcnt(0)
	v_add_f64 v[116:117], v[104:105], v[106:107]
	s_clause 0x1
	scratch_load_b64 v[104:105], off, off offset:56
	scratch_load_b64 v[106:107], off, off offset:88
	s_waitcnt vmcnt(0)
	v_add_f64 v[118:119], v[104:105], v[106:107]
	;; [unrolled: 5-line block ×3, first 2 shown]
	s_clause 0x1
	scratch_load_b64 v[104:105], off, off offset:112
	scratch_load_b64 v[106:107], off, off offset:144
	s_waitcnt vmcnt(0) lgkmcnt(0)
	s_waitcnt_vscnt null, 0x0
	s_barrier
	buffer_gl0_inv
	v_add_f64 v[140:141], v[104:105], v[106:107]
	v_fma_f64 v[104:105], v[82:83], s[16:17], v[32:33]
	v_fma_f64 v[106:107], v[84:85], s[10:11], v[233:234]
	;; [unrolled: 1-line block ×3, first 2 shown]
	s_delay_alu instid0(VALU_DEP_3) | instskip(NEXT) | instid1(VALU_DEP_3)
	v_fma_f64 v[104:105], v[78:79], s[12:13], v[104:105]
	v_fma_f64 v[106:107], v[80:81], s[18:19], v[106:107]
	s_delay_alu instid0(VALU_DEP_3) | instskip(NEXT) | instid1(VALU_DEP_3)
	v_fma_f64 v[32:33], v[78:79], s[18:19], v[32:33]
	v_fma_f64 v[104:105], v[140:141], s[4:5], v[104:105]
	;; [unrolled: 3-line block ×3, first 2 shown]
	s_delay_alu instid0(VALU_DEP_3) | instskip(SKIP_1) | instid1(VALU_DEP_2)
	v_mul_f64 v[108:109], v[104:105], s[16:17]
	v_mul_f64 v[104:105], v[104:105], s[4:5]
	v_fma_f64 v[108:109], v[106:107], s[4:5], v[108:109]
	s_delay_alu instid0(VALU_DEP_2) | instskip(SKIP_3) | instid1(VALU_DEP_3)
	v_fma_f64 v[110:111], v[106:107], s[10:11], v[104:105]
	v_fma_f64 v[104:105], v[166:167], s[10:11], v[188:189]
	;; [unrolled: 1-line block ×5, first 2 shown]
	s_delay_alu instid0(VALU_DEP_3) | instskip(NEXT) | instid1(VALU_DEP_3)
	v_fma_f64 v[106:107], v[156:157], s[12:13], v[106:107]
	v_fma_f64 v[5:6], v[156:157], s[18:19], v[5:6]
	s_delay_alu instid0(VALU_DEP_3) | instskip(NEXT) | instid1(VALU_DEP_3)
	v_fma_f64 v[144:145], v[116:117], s[4:5], v[104:105]
	v_fma_f64 v[146:147], v[118:119], s[4:5], v[106:107]
	s_delay_alu instid0(VALU_DEP_3)
	v_fma_f64 v[5:6], v[118:119], s[4:5], v[5:6]
	v_mul_f64 v[118:119], v[32:33], s[16:17]
	v_mul_f64 v[32:33], v[32:33], s[20:21]
	v_add_f64 v[104:105], v[144:145], v[108:109]
	v_add_f64 v[108:109], v[144:145], -v[108:109]
	v_fma_f64 v[144:145], v[166:167], s[16:17], v[188:189]
	v_add_f64 v[106:107], v[146:147], v[110:111]
	v_add_f64 v[110:111], v[146:147], -v[110:111]
	s_delay_alu instid0(VALU_DEP_3) | instskip(NEXT) | instid1(VALU_DEP_1)
	v_fma_f64 v[144:145], v[158:159], s[12:13], v[144:145]
	v_fma_f64 v[144:145], v[116:117], s[4:5], v[144:145]
	;; [unrolled: 1-line block ×3, first 2 shown]
	s_delay_alu instid0(VALU_DEP_1) | instskip(SKIP_1) | instid1(VALU_DEP_2)
	v_fma_f64 v[116:117], v[80:81], s[12:13], v[116:117]
	v_fma_f64 v[80:81], v[80:81], s[10:11], v[202:203]
	;; [unrolled: 1-line block ×3, first 2 shown]
	s_delay_alu instid0(VALU_DEP_2) | instskip(NEXT) | instid1(VALU_DEP_2)
	v_fma_f64 v[80:81], v[84:85], s[12:13], v[80:81]
	v_fma_f64 v[32:33], v[116:117], s[10:11], v[32:33]
	;; [unrolled: 1-line block ×3, first 2 shown]
	s_delay_alu instid0(VALU_DEP_2)
	v_add_f64 v[118:119], v[5:6], v[32:33]
	v_add_f64 v[140:141], v[5:6], -v[32:33]
	v_fma_f64 v[5:6], v[78:79], s[16:17], v[241:242]
	v_fma_f64 v[32:33], v[158:159], s[10:11], v[208:209]
	;; [unrolled: 1-line block ×3, first 2 shown]
	v_add_f64 v[116:117], v[144:145], v[138:139]
	v_add_f64 v[138:139], v[144:145], -v[138:139]
	v_fma_f64 v[144:145], v[194:195], s[10:11], v[206:207]
	v_fma_f64 v[5:6], v[82:83], s[18:19], v[5:6]
	;; [unrolled: 1-line block ×4, first 2 shown]
	s_delay_alu instid0(VALU_DEP_4) | instskip(NEXT) | instid1(VALU_DEP_4)
	v_fma_f64 v[144:145], v[204:205], s[18:19], v[144:145]
	v_fma_f64 v[5:6], v[60:61], s[4:5], v[5:6]
	s_delay_alu instid0(VALU_DEP_4)
	v_fma_f64 v[28:29], v[28:29], s[4:5], v[32:33]
	v_fma_f64 v[32:33], v[34:35], s[4:5], v[80:81]
	;; [unrolled: 1-line block ×4, first 2 shown]
	v_mul_f64 v[34:35], v[5:6], s[18:19]
	v_mul_f64 v[5:6], v[5:6], s[22:23]
	s_delay_alu instid0(VALU_DEP_3) | instskip(NEXT) | instid1(VALU_DEP_3)
	v_fma_f64 v[60:61], v[194:195], s[18:19], v[60:61]
	v_fma_f64 v[34:35], v[32:33], s[22:23], v[34:35]
	s_delay_alu instid0(VALU_DEP_3) | instskip(SKIP_1) | instid1(VALU_DEP_3)
	v_fma_f64 v[5:6], v[32:33], s[12:13], v[5:6]
	v_add_f64 v[32:33], v[98:99], v[90:91]
	v_add_f64 v[78:79], v[28:29], v[34:35]
	v_add_f64 v[82:83], v[28:29], -v[34:35]
	v_fma_f64 v[34:35], v[211:212], s[10:11], v[196:197]
	v_add_f64 v[80:81], v[30:31], v[5:6]
	v_add_f64 v[84:85], v[30:31], -v[5:6]
	v_add_f64 v[30:31], v[100:101], v[96:97]
	v_add_f64 v[5:6], v[231:232], v[251:252]
	v_fma_f64 v[96:97], v[247:248], s[10:11], v[235:236]
	v_add_f64 v[28:29], v[239:240], v[102:103]
	v_fma_f64 v[34:35], v[200:201], s[12:13], v[34:35]
	v_fma_f64 v[60:61], v[30:31], s[4:5], v[60:61]
	s_delay_alu instid0(VALU_DEP_4) | instskip(NEXT) | instid1(VALU_DEP_3)
	v_fma_f64 v[96:97], v[237:238], s[12:13], v[96:97]
	v_fma_f64 v[34:35], v[32:33], s[4:5], v[34:35]
	s_delay_alu instid0(VALU_DEP_2) | instskip(NEXT) | instid1(VALU_DEP_2)
	v_fma_f64 v[102:103], v[28:29], s[4:5], v[96:97]
	v_mul_f64 v[90:91], v[34:35], s[18:19]
	s_delay_alu instid0(VALU_DEP_1) | instskip(SKIP_1) | instid1(VALU_DEP_1)
	v_fma_f64 v[90:91], v[60:61], s[14:15], v[90:91]
	v_mul_f64 v[60:61], v[60:61], s[12:13]
	v_fma_f64 v[34:35], v[34:35], s[14:15], v[60:61]
	v_fma_f64 v[60:61], v[243:244], s[16:17], v[227:228]
	s_delay_alu instid0(VALU_DEP_2) | instskip(NEXT) | instid1(VALU_DEP_2)
	v_add_f64 v[98:99], v[102:103], v[34:35]
	v_fma_f64 v[60:61], v[229:230], s[18:19], v[60:61]
	v_add_f64 v[102:103], v[102:103], -v[34:35]
	v_add_f64 v[34:35], v[154:155], v[254:255]
	s_delay_alu instid0(VALU_DEP_3) | instskip(NEXT) | instid1(VALU_DEP_1)
	v_fma_f64 v[60:61], v[5:6], s[4:5], v[60:61]
	v_add_f64 v[96:97], v[60:61], v[90:91]
	v_add_f64 v[100:101], v[60:61], -v[90:91]
	v_add_f64 v[60:61], v[148:149], v[142:143]
	v_fma_f64 v[142:143], v[200:201], s[16:17], v[217:218]
	v_add_f64 v[90:91], v[178:179], v[219:220]
	v_fma_f64 v[148:149], v[237:238], s[16:17], v[249:250]
	s_delay_alu instid0(VALU_DEP_3) | instskip(NEXT) | instid1(VALU_DEP_3)
	v_fma_f64 v[142:143], v[211:212], s[12:13], v[142:143]
	v_fma_f64 v[144:145], v[90:91], s[4:5], v[144:145]
	s_delay_alu instid0(VALU_DEP_3) | instskip(NEXT) | instid1(VALU_DEP_3)
	v_fma_f64 v[148:149], v[247:248], s[12:13], v[148:149]
	v_fma_f64 v[142:143], v[132:133], s[4:5], v[142:143]
	s_delay_alu instid0(VALU_DEP_2) | instskip(NEXT) | instid1(VALU_DEP_2)
	v_fma_f64 v[148:149], v[60:61], s[4:5], v[148:149]
	v_mul_f64 v[146:147], v[142:143], s[16:17]
	v_mul_f64 v[142:143], v[142:143], s[4:5]
	s_delay_alu instid0(VALU_DEP_2) | instskip(NEXT) | instid1(VALU_DEP_2)
	v_fma_f64 v[146:147], v[144:145], s[4:5], v[146:147]
	v_fma_f64 v[142:143], v[144:145], s[10:11], v[142:143]
	;; [unrolled: 1-line block ×3, first 2 shown]
	s_delay_alu instid0(VALU_DEP_2) | instskip(SKIP_2) | instid1(VALU_DEP_4)
	v_add_f64 v[156:157], v[148:149], v[142:143]
	v_add_f64 v[160:161], v[148:149], -v[142:143]
	v_fma_f64 v[142:143], v[229:230], s[16:17], v[245:246]
	v_fma_f64 v[144:145], v[243:244], s[18:19], v[144:145]
	s_delay_alu instid0(VALU_DEP_2) | instskip(NEXT) | instid1(VALU_DEP_2)
	v_fma_f64 v[142:143], v[243:244], s[12:13], v[142:143]
	v_fma_f64 v[144:145], v[34:35], s[4:5], v[144:145]
	s_delay_alu instid0(VALU_DEP_2) | instskip(SKIP_1) | instid1(VALU_DEP_3)
	v_fma_f64 v[34:35], v[34:35], s[4:5], v[142:143]
	v_fma_f64 v[142:143], v[237:238], s[10:11], v[249:250]
	v_add_f64 v[154:155], v[144:145], v[146:147]
	v_add_f64 v[158:159], v[144:145], -v[146:147]
	s_delay_alu instid0(VALU_DEP_3) | instskip(NEXT) | instid1(VALU_DEP_1)
	v_fma_f64 v[142:143], v[247:248], s[18:19], v[142:143]
	v_fma_f64 v[60:61], v[60:61], s[4:5], v[142:143]
	;; [unrolled: 1-line block ×3, first 2 shown]
	s_delay_alu instid0(VALU_DEP_1) | instskip(NEXT) | instid1(VALU_DEP_1)
	v_fma_f64 v[142:143], v[211:212], s[18:19], v[142:143]
	v_fma_f64 v[132:133], v[132:133], s[4:5], v[142:143]
	;; [unrolled: 1-line block ×3, first 2 shown]
	s_delay_alu instid0(VALU_DEP_1) | instskip(NEXT) | instid1(VALU_DEP_1)
	v_fma_f64 v[142:143], v[204:205], s[12:13], v[142:143]
	v_fma_f64 v[90:91], v[90:91], s[4:5], v[142:143]
	s_delay_alu instid0(VALU_DEP_4) | instskip(SKIP_1) | instid1(VALU_DEP_2)
	v_mul_f64 v[142:143], v[132:133], s[16:17]
	v_mul_f64 v[132:133], v[132:133], s[20:21]
	v_fma_f64 v[142:143], v[90:91], s[20:21], v[142:143]
	s_delay_alu instid0(VALU_DEP_2) | instskip(SKIP_1) | instid1(VALU_DEP_3)
	v_fma_f64 v[90:91], v[90:91], s[10:11], v[132:133]
	v_fma_f64 v[132:133], v[204:205], s[10:11], v[192:193]
	v_add_f64 v[166:167], v[34:35], v[142:143]
	v_add_f64 v[170:171], v[34:35], -v[142:143]
	v_fma_f64 v[34:35], v[211:212], s[16:17], v[196:197]
	v_add_f64 v[168:169], v[60:61], v[90:91]
	v_add_f64 v[172:173], v[60:61], -v[90:91]
	v_fma_f64 v[60:61], v[243:244], s[10:11], v[227:228]
	v_fma_f64 v[90:91], v[247:248], s[16:17], v[235:236]
	;; [unrolled: 1-line block ×4, first 2 shown]
	s_delay_alu instid0(VALU_DEP_4) | instskip(NEXT) | instid1(VALU_DEP_4)
	v_fma_f64 v[60:61], v[229:230], s[12:13], v[60:61]
	v_fma_f64 v[90:91], v[237:238], s[18:19], v[90:91]
	s_delay_alu instid0(VALU_DEP_4) | instskip(NEXT) | instid1(VALU_DEP_4)
	v_fma_f64 v[30:31], v[30:31], s[4:5], v[132:133]
	v_fma_f64 v[32:33], v[32:33], s[4:5], v[34:35]
	;; [unrolled: 3-line block ×3, first 2 shown]
	s_delay_alu instid0(VALU_DEP_3) | instskip(SKIP_1) | instid1(VALU_DEP_2)
	v_mul_f64 v[34:35], v[32:33], s[18:19]
	v_mul_f64 v[32:33], v[32:33], s[22:23]
	v_fma_f64 v[34:35], v[30:31], s[22:23], v[34:35]
	s_delay_alu instid0(VALU_DEP_2) | instskip(NEXT) | instid1(VALU_DEP_2)
	v_fma_f64 v[30:31], v[30:31], s[12:13], v[32:33]
	v_add_f64 v[174:175], v[5:6], v[34:35]
	s_delay_alu instid0(VALU_DEP_2)
	v_add_f64 v[176:177], v[28:29], v[30:31]
	v_add_f64 v[178:179], v[5:6], -v[34:35]
	v_add_f64 v[180:181], v[28:29], -v[30:31]
	ds_store_b128 v0, v[1:4]
	ds_store_b128 v0, v[86:89] offset:16
	ds_store_b128 v0, v[74:77] offset:32
	;; [unrolled: 1-line block ×29, first 2 shown]
	v_cmpx_gt_u32_e32 36, v253
	s_cbranch_execz .LBB0_21
; %bb.20:
	v_add_f64 v[1:2], v[46:47], v[38:39]
	v_add_f64 v[3:4], v[54:55], v[22:23]
	v_add_f64 v[5:6], v[44:45], v[36:37]
	v_add_f64 v[28:29], v[52:53], -v[20:21]
	v_add_f64 v[30:31], v[52:53], v[20:21]
	v_add_f64 v[32:33], v[44:45], -v[36:37]
	v_add_f64 v[34:35], v[54:55], -v[22:23]
	v_add_f64 v[40:41], v[18:19], v[14:15]
	v_add_f64 v[42:43], v[54:55], -v[46:47]
	;; [unrolled: 3-line block ×4, first 2 shown]
	v_add_f64 v[76:77], v[24:25], v[8:9]
	v_add_f64 v[78:79], v[52:53], -v[44:45]
	v_add_f64 v[80:81], v[20:21], -v[36:37]
	v_add_f64 v[92:93], v[122:123], v[26:27]
	v_add_f64 v[96:97], v[120:121], v[24:25]
	v_add_f64 v[84:85], v[24:25], -v[8:9]
	v_add_f64 v[86:87], v[16:17], -v[12:13]
	;; [unrolled: 1-line block ×6, first 2 shown]
	v_add_nc_u32_e32 v0, 0x2580, v0
	v_fma_f64 v[1:2], v[1:2], -0.5, v[50:51]
	v_fma_f64 v[3:4], v[3:4], -0.5, v[50:51]
	;; [unrolled: 1-line block ×3, first 2 shown]
	v_add_f64 v[50:51], v[50:51], v[54:55]
	v_fma_f64 v[30:31], v[30:31], -0.5, v[48:49]
	v_add_f64 v[48:49], v[48:49], v[52:53]
	v_add_f64 v[54:55], v[26:27], -v[10:11]
	v_fma_f64 v[40:41], v[40:41], -0.5, v[122:123]
	v_add_f64 v[42:43], v[42:43], v[56:57]
	v_fma_f64 v[52:53], v[58:59], -0.5, v[122:123]
	v_add_f64 v[56:57], v[60:61], v[66:67]
	;; [unrolled: 2-line block ×3, first 2 shown]
	v_fma_f64 v[72:73], v[28:29], s[16:17], v[1:2]
	v_fma_f64 v[74:75], v[32:33], s[10:11], v[3:4]
	;; [unrolled: 1-line block ×8, first 2 shown]
	v_add_f64 v[46:47], v[50:51], v[46:47]
	v_add_f64 v[44:45], v[48:49], v[44:45]
	v_fma_f64 v[48:49], v[84:85], s[16:17], v[40:41]
	v_fma_f64 v[50:51], v[86:87], s[10:11], v[52:53]
	;; [unrolled: 1-line block ×9, first 2 shown]
	v_fma_f64 v[28:29], v[76:77], -0.5, v[120:121]
	v_add_f64 v[72:73], v[78:79], v[80:81]
	v_fma_f64 v[74:75], v[70:71], s[18:19], v[82:83]
	v_fma_f64 v[1:2], v[32:33], s[12:13], v[1:2]
	v_add_f64 v[32:33], v[26:27], -v[18:19]
	v_add_f64 v[26:27], v[18:19], -v[26:27]
	;; [unrolled: 1-line block ×4, first 2 shown]
	v_add_f64 v[18:19], v[92:93], v[18:19]
	v_add_f64 v[16:17], v[96:97], v[16:17]
	v_add_f64 v[76:77], v[10:11], -v[14:15]
	v_add_f64 v[78:79], v[14:15], -v[10:11]
	;; [unrolled: 1-line block ×3, first 2 shown]
	v_fma_f64 v[5:6], v[70:71], s[12:13], v[5:6]
	v_fma_f64 v[60:61], v[34:35], s[12:13], v[60:61]
	;; [unrolled: 1-line block ×11, first 2 shown]
	v_add_f64 v[24:25], v[24:25], v[98:99]
	v_add_f64 v[14:15], v[18:19], v[14:15]
	;; [unrolled: 1-line block ×8, first 2 shown]
	v_fma_f64 v[36:37], v[86:87], s[18:19], v[48:49]
	v_fma_f64 v[38:39], v[84:85], s[18:19], v[50:51]
	;; [unrolled: 1-line block ×7, first 2 shown]
	v_mul_f64 v[50:51], v[34:35], s[22:23]
	v_mul_f64 v[52:53], v[66:67], s[20:21]
	;; [unrolled: 1-line block ×3, first 2 shown]
	v_fma_f64 v[56:57], v[54:55], s[12:13], v[56:57]
	v_fma_f64 v[28:29], v[54:55], s[18:19], v[28:29]
	;; [unrolled: 1-line block ×3, first 2 shown]
	v_mul_f64 v[58:59], v[68:69], s[12:13]
	v_mul_f64 v[70:71], v[1:2], s[18:19]
	;; [unrolled: 1-line block ×5, first 2 shown]
	v_add_f64 v[10:11], v[14:15], v[10:11]
	v_add_f64 v[14:15], v[18:19], v[22:23]
	v_add_f64 v[12:13], v[12:13], v[8:9]
	v_add_f64 v[16:17], v[16:17], v[20:21]
	v_fma_f64 v[40:41], v[32:33], s[4:5], v[40:41]
	v_fma_f64 v[21:22], v[32:33], s[4:5], v[36:37]
	;; [unrolled: 1-line block ×16, first 2 shown]
	v_add_f64 v[7:8], v[10:11], v[14:15]
	v_add_f64 v[3:4], v[10:11], -v[14:15]
	v_add_f64 v[5:6], v[12:13], v[16:17]
	v_add_f64 v[1:2], v[12:13], -v[16:17]
	v_add_f64 v[11:12], v[21:22], -v[26:27]
	;; [unrolled: 1-line block ×3, first 2 shown]
	v_add_f64 v[23:24], v[21:22], v[26:27]
	v_add_f64 v[27:28], v[36:37], v[32:33]
	;; [unrolled: 1-line block ×3, first 2 shown]
	v_add_f64 v[19:20], v[38:39], -v[46:47]
	v_add_f64 v[35:36], v[40:41], v[54:55]
	v_add_f64 v[33:34], v[42:43], v[56:57]
	;; [unrolled: 1-line block ×5, first 2 shown]
	v_add_f64 v[39:40], v[40:41], -v[54:55]
	v_add_f64 v[37:38], v[42:43], -v[56:57]
	;; [unrolled: 1-line block ×5, first 2 shown]
	ds_store_b128 v0, v[5:8] offset:19200
	ds_store_b128 v0, v[33:36] offset:19216
	;; [unrolled: 1-line block ×10, first 2 shown]
.LBB0_21:
	s_or_b32 exec_lo, exec_lo, s1
	v_and_b32_e32 v0, 0xff, v253
	s_waitcnt lgkmcnt(0)
	s_barrier
	buffer_gl0_inv
	v_add_nc_u32_e32 v24, 60, v253
	v_mul_lo_u16 v0, 0xcd, v0
	s_mov_b32 s10, 0xe8584caa
	s_mov_b32 s11, 0xbfebb67a
	;; [unrolled: 1-line block ×4, first 2 shown]
	v_lshrrev_b16 v25, 11, v0
	s_delay_alu instid0(VALU_DEP_1) | instskip(SKIP_1) | instid1(VALU_DEP_2)
	v_mul_lo_u16 v0, v25, 10
	v_and_b32_e32 v25, 0xffff, v25
	v_sub_nc_u16 v0, v253, v0
	s_delay_alu instid0(VALU_DEP_2) | instskip(NEXT) | instid1(VALU_DEP_2)
	v_mul_u32_u24_e32 v25, 0x3c0, v25
	v_and_b32_e32 v26, 0xff, v0
	s_delay_alu instid0(VALU_DEP_1) | instskip(SKIP_1) | instid1(VALU_DEP_2)
	v_mul_u32_u24_e32 v0, 5, v26
	v_lshlrev_b32_e32 v26, 4, v26
	v_lshlrev_b32_e32 v27, 4, v0
	s_delay_alu instid0(VALU_DEP_2)
	v_add3_u32 v25, 0, v25, v26
	s_clause 0x3
	global_load_b128 v[0:3], v27, s[8:9]
	global_load_b128 v[12:15], v27, s[8:9] offset:16
	global_load_b128 v[8:11], v27, s[8:9] offset:32
	;; [unrolled: 1-line block ×3, first 2 shown]
	ds_load_b128 v[16:19], v210 offset:5760
	ds_load_b128 v[20:23], v210 offset:4800
	;; [unrolled: 1-line block ×4, first 2 shown]
	s_waitcnt vmcnt(3) lgkmcnt(3)
	v_mul_f64 v[36:37], v[18:19], v[2:3]
	v_mul_f64 v[2:3], v[16:17], v[2:3]
	s_waitcnt vmcnt(2) lgkmcnt(1)
	v_mul_f64 v[38:39], v[30:31], v[14:15]
	v_mul_f64 v[14:15], v[28:29], v[14:15]
	s_delay_alu instid0(VALU_DEP_4) | instskip(NEXT) | instid1(VALU_DEP_4)
	v_fma_f64 v[60:61], v[16:17], v[0:1], v[36:37]
	v_fma_f64 v[66:67], v[18:19], v[0:1], -v[2:3]
	ds_load_b128 v[0:3], v210 offset:17280
	v_fma_f64 v[68:69], v[28:29], v[12:13], v[38:39]
	v_fma_f64 v[70:71], v[30:31], v[12:13], -v[14:15]
	ds_load_b128 v[28:31], v210 offset:16320
	s_waitcnt vmcnt(1) lgkmcnt(1)
	v_mul_f64 v[12:13], v[2:3], v[10:11]
	v_mul_f64 v[10:11], v[0:1], v[10:11]
	s_delay_alu instid0(VALU_DEP_2) | instskip(NEXT) | instid1(VALU_DEP_2)
	v_fma_f64 v[72:73], v[0:1], v[8:9], v[12:13]
	v_fma_f64 v[74:75], v[2:3], v[8:9], -v[10:11]
	ds_load_b128 v[0:3], v210 offset:23040
	ds_load_b128 v[8:11], v210 offset:22080
	s_waitcnt vmcnt(0) lgkmcnt(1)
	v_mul_f64 v[12:13], v[2:3], v[6:7]
	s_delay_alu instid0(VALU_DEP_1) | instskip(SKIP_1) | instid1(VALU_DEP_1)
	v_fma_f64 v[76:77], v[0:1], v[4:5], v[12:13]
	v_mul_f64 v[0:1], v[0:1], v[6:7]
	v_fma_f64 v[78:79], v[2:3], v[4:5], -v[0:1]
	v_and_b32_e32 v0, 0xff, v24
	s_delay_alu instid0(VALU_DEP_1) | instskip(NEXT) | instid1(VALU_DEP_1)
	v_mul_lo_u16 v0, 0xcd, v0
	v_lshrrev_b16 v180, 11, v0
	s_delay_alu instid0(VALU_DEP_1) | instskip(NEXT) | instid1(VALU_DEP_1)
	v_mul_lo_u16 v0, v180, 10
	v_sub_nc_u16 v0, v24, v0
	s_delay_alu instid0(VALU_DEP_1) | instskip(NEXT) | instid1(VALU_DEP_1)
	v_and_b32_e32 v181, 0xff, v0
	v_mul_u32_u24_e32 v0, 5, v181
	s_delay_alu instid0(VALU_DEP_1)
	v_lshlrev_b32_e32 v48, 4, v0
	s_clause 0x1
	global_load_b128 v[0:3], v27, s[8:9] offset:64
	global_load_b128 v[4:7], v48, s[8:9]
	ds_load_b128 v[12:15], v210 offset:28800
	ds_load_b128 v[36:39], v210 offset:27840
	s_waitcnt vmcnt(1) lgkmcnt(1)
	v_mul_f64 v[16:17], v[14:15], v[2:3]
	v_mul_f64 v[2:3], v[12:13], v[2:3]
	s_delay_alu instid0(VALU_DEP_2) | instskip(NEXT) | instid1(VALU_DEP_2)
	v_fma_f64 v[80:81], v[12:13], v[0:1], v[16:17]
	v_fma_f64 v[82:83], v[14:15], v[0:1], -v[2:3]
	ds_load_b128 v[0:3], v210 offset:6720
	ds_load_b128 v[12:15], v210 offset:7680
	s_waitcnt vmcnt(0) lgkmcnt(1)
	v_mul_f64 v[16:17], v[2:3], v[6:7]
	s_delay_alu instid0(VALU_DEP_1) | instskip(SKIP_1) | instid1(VALU_DEP_1)
	v_fma_f64 v[84:85], v[0:1], v[4:5], v[16:17]
	v_mul_f64 v[0:1], v[0:1], v[6:7]
	v_fma_f64 v[86:87], v[2:3], v[4:5], -v[0:1]
	s_clause 0x1
	global_load_b128 v[0:3], v48, s[8:9] offset:16
	global_load_b128 v[4:7], v48, s[8:9] offset:32
	ds_load_b128 v[16:19], v210 offset:12480
	ds_load_b128 v[40:43], v210 offset:13440
	s_waitcnt vmcnt(1) lgkmcnt(1)
	v_mul_f64 v[44:45], v[18:19], v[2:3]
	v_mul_f64 v[2:3], v[16:17], v[2:3]
	s_delay_alu instid0(VALU_DEP_2) | instskip(NEXT) | instid1(VALU_DEP_2)
	v_fma_f64 v[88:89], v[16:17], v[0:1], v[44:45]
	v_fma_f64 v[90:91], v[18:19], v[0:1], -v[2:3]
	ds_load_b128 v[0:3], v210 offset:18240
	ds_load_b128 v[44:47], v210 offset:19200
	s_waitcnt vmcnt(0) lgkmcnt(1)
	v_mul_f64 v[16:17], v[2:3], v[6:7]
	s_delay_alu instid0(VALU_DEP_1) | instskip(SKIP_1) | instid1(VALU_DEP_1)
	v_fma_f64 v[92:93], v[0:1], v[4:5], v[16:17]
	v_mul_f64 v[0:1], v[0:1], v[6:7]
	v_fma_f64 v[94:95], v[2:3], v[4:5], -v[0:1]
	s_clause 0x1
	global_load_b128 v[0:3], v48, s[8:9] offset:48
	global_load_b128 v[4:7], v48, s[8:9] offset:64
	ds_load_b128 v[16:19], v210 offset:24000
	ds_load_b128 v[48:51], v210 offset:24960
	s_waitcnt vmcnt(1) lgkmcnt(1)
	v_mul_f64 v[52:53], v[18:19], v[2:3]
	v_mul_f64 v[2:3], v[16:17], v[2:3]
	s_delay_alu instid0(VALU_DEP_2) | instskip(NEXT) | instid1(VALU_DEP_2)
	v_fma_f64 v[96:97], v[16:17], v[0:1], v[52:53]
	v_fma_f64 v[98:99], v[18:19], v[0:1], -v[2:3]
	ds_load_b128 v[0:3], v210 offset:29760
	ds_load_b128 v[52:55], v210 offset:30720
	s_waitcnt vmcnt(0) lgkmcnt(1)
	v_mul_f64 v[16:17], v[2:3], v[6:7]
	s_delay_alu instid0(VALU_DEP_1) | instskip(SKIP_2) | instid1(VALU_DEP_1)
	v_fma_f64 v[100:101], v[0:1], v[4:5], v[16:17]
	v_mul_f64 v[0:1], v[0:1], v[6:7]
	v_add_nc_u16 v17, v253, 0x78
	v_and_b32_e32 v19, 0xff, v17
	s_delay_alu instid0(VALU_DEP_3) | instskip(NEXT) | instid1(VALU_DEP_2)
	v_fma_f64 v[102:103], v[2:3], v[4:5], -v[0:1]
	v_mul_lo_u16 v0, 0xcd, v19
	s_delay_alu instid0(VALU_DEP_1) | instskip(NEXT) | instid1(VALU_DEP_1)
	v_lshrrev_b16 v182, 11, v0
	v_mul_lo_u16 v0, v182, 10
	s_delay_alu instid0(VALU_DEP_1) | instskip(NEXT) | instid1(VALU_DEP_1)
	v_sub_nc_u16 v0, v17, v0
	v_and_b32_e32 v183, 0xff, v0
	s_delay_alu instid0(VALU_DEP_1) | instskip(NEXT) | instid1(VALU_DEP_1)
	v_mul_u32_u24_e32 v0, 5, v183
	v_lshlrev_b32_e32 v16, 4, v0
	s_clause 0x1
	global_load_b128 v[0:3], v16, s[8:9]
	global_load_b128 v[4:7], v16, s[8:9] offset:16
	s_waitcnt vmcnt(1)
	v_mul_f64 v[56:57], v[14:15], v[2:3]
	v_mul_f64 v[2:3], v[12:13], v[2:3]
	s_delay_alu instid0(VALU_DEP_2) | instskip(NEXT) | instid1(VALU_DEP_2)
	v_fma_f64 v[104:105], v[12:13], v[0:1], v[56:57]
	v_fma_f64 v[106:107], v[14:15], v[0:1], -v[2:3]
	s_waitcnt vmcnt(0)
	v_mul_f64 v[0:1], v[42:43], v[6:7]
	s_delay_alu instid0(VALU_DEP_1) | instskip(SKIP_1) | instid1(VALU_DEP_1)
	v_fma_f64 v[108:109], v[40:41], v[4:5], v[0:1]
	v_mul_f64 v[0:1], v[40:41], v[6:7]
	v_fma_f64 v[110:111], v[42:43], v[4:5], -v[0:1]
	s_clause 0x1
	global_load_b128 v[0:3], v16, s[8:9] offset:32
	global_load_b128 v[4:7], v16, s[8:9] offset:48
	s_waitcnt vmcnt(1)
	v_mul_f64 v[12:13], v[46:47], v[2:3]
	v_mul_f64 v[2:3], v[44:45], v[2:3]
	s_delay_alu instid0(VALU_DEP_2) | instskip(NEXT) | instid1(VALU_DEP_2)
	v_fma_f64 v[112:113], v[44:45], v[0:1], v[12:13]
	v_fma_f64 v[114:115], v[46:47], v[0:1], -v[2:3]
	s_waitcnt vmcnt(0)
	v_mul_f64 v[0:1], v[50:51], v[6:7]
	v_add_nc_u16 v12, v253, 0xb4
	s_delay_alu instid0(VALU_DEP_1) | instskip(NEXT) | instid1(VALU_DEP_3)
	v_and_b32_e32 v14, 0xff, v12
	v_fma_f64 v[116:117], v[48:49], v[4:5], v[0:1]
	v_mul_f64 v[0:1], v[48:49], v[6:7]
	s_delay_alu instid0(VALU_DEP_1) | instskip(NEXT) | instid1(VALU_DEP_4)
	v_fma_f64 v[118:119], v[50:51], v[4:5], -v[0:1]
	v_mul_lo_u16 v0, 0xcd, v14
	s_delay_alu instid0(VALU_DEP_1) | instskip(NEXT) | instid1(VALU_DEP_1)
	v_lshrrev_b16 v184, 11, v0
	v_mul_lo_u16 v0, v184, 10
	s_delay_alu instid0(VALU_DEP_1) | instskip(NEXT) | instid1(VALU_DEP_1)
	v_sub_nc_u16 v0, v12, v0
	v_and_b32_e32 v185, 0xff, v0
	s_delay_alu instid0(VALU_DEP_1) | instskip(NEXT) | instid1(VALU_DEP_1)
	v_mul_u32_u24_e32 v0, 5, v185
	v_lshlrev_b32_e32 v13, 4, v0
	s_clause 0x1
	global_load_b128 v[0:3], v16, s[8:9] offset:64
	global_load_b128 v[4:7], v13, s[8:9]
	s_waitcnt vmcnt(1) lgkmcnt(0)
	v_mul_f64 v[15:16], v[54:55], v[2:3]
	v_mul_f64 v[2:3], v[52:53], v[2:3]
	s_delay_alu instid0(VALU_DEP_2) | instskip(NEXT) | instid1(VALU_DEP_2)
	v_fma_f64 v[120:121], v[52:53], v[0:1], v[15:16]
	v_fma_f64 v[122:123], v[54:55], v[0:1], -v[2:3]
	ds_load_b128 v[0:3], v210 offset:8640
	ds_load_b128 v[40:43], v210 offset:9600
	s_waitcnt vmcnt(0) lgkmcnt(1)
	v_mul_f64 v[15:16], v[2:3], v[6:7]
	s_delay_alu instid0(VALU_DEP_1) | instskip(SKIP_1) | instid1(VALU_DEP_1)
	v_fma_f64 v[124:125], v[0:1], v[4:5], v[15:16]
	v_mul_f64 v[0:1], v[0:1], v[6:7]
	v_fma_f64 v[126:127], v[2:3], v[4:5], -v[0:1]
	s_clause 0x1
	global_load_b128 v[0:3], v13, s[8:9] offset:16
	global_load_b128 v[4:7], v13, s[8:9] offset:32
	ds_load_b128 v[44:47], v210 offset:14400
	ds_load_b128 v[48:51], v210 offset:15360
	s_waitcnt vmcnt(1) lgkmcnt(1)
	v_mul_f64 v[15:16], v[46:47], v[2:3]
	v_mul_f64 v[2:3], v[44:45], v[2:3]
	s_delay_alu instid0(VALU_DEP_2) | instskip(NEXT) | instid1(VALU_DEP_2)
	v_fma_f64 v[128:129], v[44:45], v[0:1], v[15:16]
	v_fma_f64 v[130:131], v[46:47], v[0:1], -v[2:3]
	ds_load_b128 v[0:3], v210 offset:20160
	ds_load_b128 v[44:47], v210 offset:21120
	s_waitcnt vmcnt(0) lgkmcnt(1)
	v_mul_f64 v[15:16], v[2:3], v[6:7]
	s_delay_alu instid0(VALU_DEP_1) | instskip(SKIP_1) | instid1(VALU_DEP_1)
	v_fma_f64 v[132:133], v[0:1], v[4:5], v[15:16]
	v_mul_f64 v[0:1], v[0:1], v[6:7]
	v_fma_f64 v[134:135], v[2:3], v[4:5], -v[0:1]
	s_clause 0x1
	global_load_b128 v[0:3], v13, s[8:9] offset:48
	global_load_b128 v[4:7], v13, s[8:9] offset:64
	ds_load_b128 v[52:55], v210 offset:25920
	ds_load_b128 v[56:59], v210 offset:26880
	v_add_nc_u32_e32 v13, 0x12c, v253
	s_waitcnt vmcnt(1) lgkmcnt(1)
	v_mul_f64 v[15:16], v[54:55], v[2:3]
	v_mul_f64 v[2:3], v[52:53], v[2:3]
	s_delay_alu instid0(VALU_DEP_2) | instskip(NEXT) | instid1(VALU_DEP_2)
	v_fma_f64 v[136:137], v[52:53], v[0:1], v[15:16]
	v_fma_f64 v[138:139], v[54:55], v[0:1], -v[2:3]
	ds_load_b128 v[0:3], v210 offset:31680
	ds_load_b128 v[52:55], v210 offset:32640
	s_waitcnt vmcnt(0) lgkmcnt(1)
	v_mul_f64 v[15:16], v[2:3], v[6:7]
	s_delay_alu instid0(VALU_DEP_1) | instskip(SKIP_3) | instid1(VALU_DEP_2)
	v_fma_f64 v[140:141], v[0:1], v[4:5], v[15:16]
	v_mul_f64 v[0:1], v[0:1], v[6:7]
	v_add_nc_u32_e32 v16, 0xf0, v253
	v_and_b32_e32 v15, 0xffff, v13
	v_and_b32_e32 v18, 0xffff, v16
	s_delay_alu instid0(VALU_DEP_4) | instskip(NEXT) | instid1(VALU_DEP_2)
	v_fma_f64 v[142:143], v[2:3], v[4:5], -v[0:1]
	v_mul_u32_u24_e32 v0, 0xcccd, v18
	s_delay_alu instid0(VALU_DEP_1) | instskip(NEXT) | instid1(VALU_DEP_1)
	v_lshrrev_b32_e32 v186, 19, v0
	v_mul_lo_u16 v0, v186, 10
	s_delay_alu instid0(VALU_DEP_1) | instskip(NEXT) | instid1(VALU_DEP_1)
	v_sub_nc_u16 v0, v16, v0
	v_and_b32_e32 v187, 0xffff, v0
	s_delay_alu instid0(VALU_DEP_1) | instskip(NEXT) | instid1(VALU_DEP_1)
	v_mul_u32_u24_e32 v0, 5, v187
	v_lshlrev_b32_e32 v27, 4, v0
	s_clause 0x1
	global_load_b128 v[0:3], v27, s[8:9]
	global_load_b128 v[4:7], v27, s[8:9] offset:16
	s_waitcnt vmcnt(1)
	v_mul_f64 v[144:145], v[42:43], v[2:3]
	v_mul_f64 v[2:3], v[40:41], v[2:3]
	s_delay_alu instid0(VALU_DEP_2) | instskip(NEXT) | instid1(VALU_DEP_2)
	v_fma_f64 v[144:145], v[40:41], v[0:1], v[144:145]
	v_fma_f64 v[146:147], v[42:43], v[0:1], -v[2:3]
	s_waitcnt vmcnt(0)
	v_mul_f64 v[0:1], v[50:51], v[6:7]
	s_delay_alu instid0(VALU_DEP_1) | instskip(SKIP_1) | instid1(VALU_DEP_1)
	v_fma_f64 v[148:149], v[48:49], v[4:5], v[0:1]
	v_mul_f64 v[0:1], v[48:49], v[6:7]
	v_fma_f64 v[150:151], v[50:51], v[4:5], -v[0:1]
	s_clause 0x1
	global_load_b128 v[0:3], v27, s[8:9] offset:32
	global_load_b128 v[4:7], v27, s[8:9] offset:48
	s_waitcnt vmcnt(1)
	v_mul_f64 v[40:41], v[46:47], v[2:3]
	v_mul_f64 v[2:3], v[44:45], v[2:3]
	s_delay_alu instid0(VALU_DEP_2) | instskip(NEXT) | instid1(VALU_DEP_2)
	v_fma_f64 v[152:153], v[44:45], v[0:1], v[40:41]
	v_fma_f64 v[154:155], v[46:47], v[0:1], -v[2:3]
	s_waitcnt vmcnt(0)
	v_mul_f64 v[0:1], v[58:59], v[6:7]
	v_add_f64 v[43:44], v[74:75], -v[82:83]
	s_delay_alu instid0(VALU_DEP_2) | instskip(SKIP_1) | instid1(VALU_DEP_1)
	v_fma_f64 v[156:157], v[56:57], v[4:5], v[0:1]
	v_mul_f64 v[0:1], v[56:57], v[6:7]
	v_fma_f64 v[56:57], v[58:59], v[4:5], -v[0:1]
	v_mul_u32_u24_e32 v0, 0xcccd, v15
	s_delay_alu instid0(VALU_DEP_1) | instskip(NEXT) | instid1(VALU_DEP_1)
	v_lshrrev_b32_e32 v188, 19, v0
	v_mul_lo_u16 v0, v188, 10
	s_delay_alu instid0(VALU_DEP_1) | instskip(NEXT) | instid1(VALU_DEP_1)
	v_sub_nc_u16 v0, v13, v0
	v_and_b32_e32 v189, 0xffff, v0
	s_delay_alu instid0(VALU_DEP_1) | instskip(NEXT) | instid1(VALU_DEP_1)
	v_mul_u32_u24_e32 v0, 5, v189
	v_lshlrev_b32_e32 v42, 4, v0
	s_clause 0x1
	global_load_b128 v[0:3], v27, s[8:9] offset:64
	global_load_b128 v[4:7], v42, s[8:9]
	s_waitcnt vmcnt(1) lgkmcnt(0)
	v_mul_f64 v[40:41], v[54:55], v[2:3]
	v_mul_f64 v[2:3], v[52:53], v[2:3]
	s_delay_alu instid0(VALU_DEP_2) | instskip(NEXT) | instid1(VALU_DEP_2)
	v_fma_f64 v[58:59], v[52:53], v[0:1], v[40:41]
	v_fma_f64 v[158:159], v[54:55], v[0:1], -v[2:3]
	s_waitcnt vmcnt(0)
	v_mul_f64 v[0:1], v[34:35], v[6:7]
	s_delay_alu instid0(VALU_DEP_1) | instskip(SKIP_1) | instid1(VALU_DEP_1)
	v_fma_f64 v[160:161], v[32:33], v[4:5], v[0:1]
	v_mul_f64 v[0:1], v[32:33], v[6:7]
	v_fma_f64 v[162:163], v[34:35], v[4:5], -v[0:1]
	s_clause 0x1
	global_load_b128 v[0:3], v42, s[8:9] offset:16
	global_load_b128 v[4:7], v42, s[8:9] offset:32
	s_waitcnt vmcnt(1)
	v_mul_f64 v[32:33], v[30:31], v[2:3]
	v_mul_f64 v[2:3], v[28:29], v[2:3]
	s_delay_alu instid0(VALU_DEP_2) | instskip(NEXT) | instid1(VALU_DEP_2)
	v_fma_f64 v[164:165], v[28:29], v[0:1], v[32:33]
	v_fma_f64 v[166:167], v[30:31], v[0:1], -v[2:3]
	s_waitcnt vmcnt(0)
	v_mul_f64 v[0:1], v[10:11], v[6:7]
	s_delay_alu instid0(VALU_DEP_1) | instskip(SKIP_1) | instid1(VALU_DEP_1)
	v_fma_f64 v[168:169], v[8:9], v[4:5], v[0:1]
	v_mul_f64 v[0:1], v[8:9], v[6:7]
	v_fma_f64 v[170:171], v[10:11], v[4:5], -v[0:1]
	s_clause 0x1
	global_load_b128 v[0:3], v42, s[8:9] offset:48
	global_load_b128 v[4:7], v42, s[8:9] offset:64
	v_add_f64 v[41:42], v[68:69], -v[76:77]
	s_waitcnt vmcnt(1)
	v_mul_f64 v[8:9], v[38:39], v[2:3]
	v_mul_f64 v[2:3], v[36:37], v[2:3]
	s_delay_alu instid0(VALU_DEP_2) | instskip(NEXT) | instid1(VALU_DEP_2)
	v_fma_f64 v[172:173], v[36:37], v[0:1], v[8:9]
	v_fma_f64 v[174:175], v[38:39], v[0:1], -v[2:3]
	ds_load_b128 v[0:3], v210 offset:33600
	ds_load_b128 v[8:11], v210
	v_add_f64 v[35:36], v[72:73], -v[80:81]
	v_add_f64 v[39:40], v[70:71], -v[78:79]
	s_waitcnt vmcnt(0) lgkmcnt(1)
	v_mul_f64 v[27:28], v[2:3], v[6:7]
	s_delay_alu instid0(VALU_DEP_1) | instskip(SKIP_1) | instid1(VALU_DEP_1)
	v_fma_f64 v[176:177], v[0:1], v[4:5], v[27:28]
	v_mul_f64 v[0:1], v[0:1], v[6:7]
	v_fma_f64 v[178:179], v[2:3], v[4:5], -v[0:1]
	v_add_f64 v[0:1], v[68:69], v[76:77]
	s_waitcnt lgkmcnt(0)
	v_add_f64 v[2:3], v[10:11], v[70:71]
	s_delay_alu instid0(VALU_DEP_2) | instskip(SKIP_1) | instid1(VALU_DEP_3)
	v_fma_f64 v[31:32], v[0:1], -0.5, v[8:9]
	v_add_f64 v[0:1], v[70:71], v[78:79]
	v_add_f64 v[6:7], v[2:3], v[78:79]
	s_delay_alu instid0(VALU_DEP_2) | instskip(SKIP_1) | instid1(VALU_DEP_2)
	v_fma_f64 v[33:34], v[0:1], -0.5, v[10:11]
	v_add_f64 v[0:1], v[8:9], v[68:69]
	v_fma_f64 v[49:50], v[41:42], s[4:5], v[33:34]
	s_delay_alu instid0(VALU_DEP_2) | instskip(SKIP_1) | instid1(VALU_DEP_1)
	v_add_f64 v[4:5], v[0:1], v[76:77]
	v_add_f64 v[0:1], v[60:61], v[72:73]
	;; [unrolled: 1-line block ×4, first 2 shown]
	s_delay_alu instid0(VALU_DEP_1) | instskip(NEXT) | instid1(VALU_DEP_3)
	v_add_f64 v[10:11], v[0:1], v[82:83]
	v_add_f64 v[0:1], v[4:5], v[8:9]
	v_add_f64 v[4:5], v[4:5], -v[8:9]
	v_add_f64 v[8:9], v[72:73], v[80:81]
	s_delay_alu instid0(VALU_DEP_4) | instskip(SKIP_2) | instid1(VALU_DEP_4)
	v_add_f64 v[2:3], v[6:7], v[10:11]
	v_add_f64 v[6:7], v[6:7], -v[10:11]
	v_add_f64 v[10:11], v[74:75], v[82:83]
	v_fma_f64 v[45:46], v[8:9], -0.5, v[60:61]
	s_delay_alu instid0(VALU_DEP_2) | instskip(NEXT) | instid1(VALU_DEP_2)
	v_fma_f64 v[37:38], v[10:11], -0.5, v[66:67]
	v_fma_f64 v[27:28], v[43:44], s[10:11], v[45:46]
	s_delay_alu instid0(VALU_DEP_2) | instskip(SKIP_2) | instid1(VALU_DEP_3)
	v_fma_f64 v[8:9], v[35:36], s[4:5], v[37:38]
	v_fma_f64 v[35:36], v[35:36], s[10:11], v[37:38]
	;; [unrolled: 1-line block ×3, first 2 shown]
	v_mul_f64 v[10:11], v[8:9], s[10:11]
	v_mul_f64 v[8:9], v[8:9], 0.5
	s_delay_alu instid0(VALU_DEP_2) | instskip(NEXT) | instid1(VALU_DEP_2)
	v_fma_f64 v[29:30], v[27:28], 0.5, v[10:11]
	v_fma_f64 v[47:48], v[27:28], s[4:5], v[8:9]
	v_fma_f64 v[27:28], v[39:40], s[10:11], v[31:32]
	;; [unrolled: 1-line block ×4, first 2 shown]
	v_mul_f64 v[33:34], v[35:36], s[10:11]
	v_mul_f64 v[35:36], v[35:36], -0.5
	v_add_f64 v[10:11], v[49:50], v[47:48]
	v_add_f64 v[8:9], v[27:28], v[29:30]
	v_add_f64 v[27:28], v[27:28], -v[29:30]
	v_add_f64 v[29:30], v[49:50], -v[47:48]
	v_fma_f64 v[41:42], v[31:32], -0.5, v[33:34]
	v_fma_f64 v[43:44], v[31:32], s[4:5], v[35:36]
	s_delay_alu instid0(VALU_DEP_2) | instskip(NEXT) | instid1(VALU_DEP_2)
	v_add_f64 v[31:32], v[37:38], v[41:42]
	v_add_f64 v[33:34], v[39:40], v[43:44]
	v_add_f64 v[35:36], v[37:38], -v[41:42]
	v_add_f64 v[37:38], v[39:40], -v[43:44]
	ds_load_b128 v[39:42], v210 offset:960
	ds_load_b128 v[43:46], v210 offset:1920
	ds_load_b128 v[47:50], v210 offset:2880
	ds_load_b128 v[51:54], v210 offset:3840
	s_waitcnt lgkmcnt(0)
	s_barrier
	buffer_gl0_inv
	ds_store_b128 v25, v[0:3]
	ds_store_b128 v25, v[8:11] offset:160
	ds_store_b128 v25, v[4:7] offset:480
	;; [unrolled: 1-line block ×5, first 2 shown]
	v_add_f64 v[0:1], v[88:89], v[96:97]
	v_add_f64 v[2:3], v[41:42], v[90:91]
	v_add_f64 v[33:34], v[92:93], -v[100:101]
	v_add_f64 v[37:38], v[90:91], -v[98:99]
	s_delay_alu instid0(VALU_DEP_4) | instskip(SKIP_2) | instid1(VALU_DEP_2)
	v_fma_f64 v[29:30], v[0:1], -0.5, v[39:40]
	v_add_f64 v[0:1], v[90:91], v[98:99]
	v_add_f64 v[6:7], v[2:3], v[98:99]
	v_fma_f64 v[31:32], v[0:1], -0.5, v[41:42]
	v_add_f64 v[0:1], v[39:40], v[88:89]
	v_add_f64 v[41:42], v[94:95], -v[102:103]
	v_add_f64 v[39:40], v[88:89], -v[96:97]
	s_delay_alu instid0(VALU_DEP_3) | instskip(SKIP_1) | instid1(VALU_DEP_3)
	v_add_f64 v[4:5], v[0:1], v[96:97]
	v_add_f64 v[0:1], v[84:85], v[92:93]
	v_fma_f64 v[68:69], v[39:40], s[4:5], v[31:32]
	s_delay_alu instid0(VALU_DEP_2) | instskip(SKIP_1) | instid1(VALU_DEP_1)
	v_add_f64 v[8:9], v[0:1], v[100:101]
	v_add_f64 v[0:1], v[86:87], v[94:95]
	;; [unrolled: 1-line block ×3, first 2 shown]
	s_delay_alu instid0(VALU_DEP_3) | instskip(SKIP_2) | instid1(VALU_DEP_4)
	v_add_f64 v[0:1], v[4:5], v[8:9]
	v_add_f64 v[4:5], v[4:5], -v[8:9]
	v_add_f64 v[8:9], v[92:93], v[100:101]
	v_add_f64 v[2:3], v[6:7], v[10:11]
	v_add_f64 v[6:7], v[6:7], -v[10:11]
	v_add_f64 v[10:11], v[94:95], v[102:103]
	s_delay_alu instid0(VALU_DEP_4) | instskip(NEXT) | instid1(VALU_DEP_2)
	v_fma_f64 v[60:61], v[8:9], -0.5, v[84:85]
	v_fma_f64 v[35:36], v[10:11], -0.5, v[86:87]
	s_delay_alu instid0(VALU_DEP_2) | instskip(NEXT) | instid1(VALU_DEP_2)
	v_fma_f64 v[25:26], v[41:42], s[10:11], v[60:61]
	v_fma_f64 v[8:9], v[33:34], s[4:5], v[35:36]
	;; [unrolled: 1-line block ×4, first 2 shown]
	s_delay_alu instid0(VALU_DEP_3) | instskip(SKIP_1) | instid1(VALU_DEP_2)
	v_mul_f64 v[10:11], v[8:9], s[10:11]
	v_mul_f64 v[8:9], v[8:9], 0.5
	v_fma_f64 v[27:28], v[25:26], 0.5, v[10:11]
	s_delay_alu instid0(VALU_DEP_2)
	v_fma_f64 v[66:67], v[25:26], s[4:5], v[8:9]
	v_fma_f64 v[25:26], v[37:38], s[10:11], v[29:30]
	;; [unrolled: 1-line block ×4, first 2 shown]
	v_mul_f64 v[31:32], v[33:34], s[10:11]
	v_mul_f64 v[33:34], v[33:34], -0.5
	v_add_f64 v[10:11], v[68:69], v[66:67]
	v_add_f64 v[8:9], v[25:26], v[27:28]
	v_add_f64 v[25:26], v[25:26], -v[27:28]
	v_add_f64 v[27:28], v[68:69], -v[66:67]
	v_fma_f64 v[39:40], v[29:30], -0.5, v[31:32]
	v_fma_f64 v[41:42], v[29:30], s[4:5], v[33:34]
	v_add_f64 v[66:67], v[170:171], -v[178:179]
	s_delay_alu instid0(VALU_DEP_3) | instskip(NEXT) | instid1(VALU_DEP_3)
	v_add_f64 v[29:30], v[35:36], v[39:40]
	v_add_f64 v[31:32], v[37:38], v[41:42]
	v_add_f64 v[33:34], v[35:36], -v[39:40]
	v_add_f64 v[35:36], v[37:38], -v[41:42]
	v_and_b32_e32 v37, 0xffff, v180
	v_lshlrev_b32_e32 v38, 4, v181
	v_add_f64 v[41:42], v[114:115], -v[122:123]
	v_add_f64 v[39:40], v[108:109], -v[116:117]
	s_delay_alu instid0(VALU_DEP_4) | instskip(NEXT) | instid1(VALU_DEP_1)
	v_mul_u32_u24_e32 v37, 0x3c0, v37
	v_add3_u32 v37, 0, v37, v38
	ds_store_b128 v37, v[0:3]
	ds_store_b128 v37, v[8:11] offset:160
	ds_store_b128 v37, v[4:7] offset:480
	;; [unrolled: 1-line block ×5, first 2 shown]
	v_add_f64 v[0:1], v[108:109], v[116:117]
	v_add_f64 v[2:3], v[45:46], v[110:111]
	v_add_f64 v[33:34], v[112:113], -v[120:121]
	v_add_f64 v[37:38], v[110:111], -v[118:119]
	s_delay_alu instid0(VALU_DEP_4) | instskip(SKIP_2) | instid1(VALU_DEP_2)
	v_fma_f64 v[29:30], v[0:1], -0.5, v[43:44]
	v_add_f64 v[0:1], v[110:111], v[118:119]
	v_add_f64 v[6:7], v[2:3], v[118:119]
	v_fma_f64 v[31:32], v[0:1], -0.5, v[45:46]
	v_add_f64 v[0:1], v[43:44], v[108:109]
	s_delay_alu instid0(VALU_DEP_2) | instskip(NEXT) | instid1(VALU_DEP_2)
	v_fma_f64 v[60:61], v[39:40], s[4:5], v[31:32]
	v_add_f64 v[4:5], v[0:1], v[116:117]
	v_add_f64 v[0:1], v[104:105], v[112:113]
	s_delay_alu instid0(VALU_DEP_1) | instskip(SKIP_1) | instid1(VALU_DEP_1)
	v_add_f64 v[8:9], v[0:1], v[120:121]
	v_add_f64 v[0:1], v[106:107], v[114:115]
	;; [unrolled: 1-line block ×3, first 2 shown]
	s_delay_alu instid0(VALU_DEP_3) | instskip(SKIP_2) | instid1(VALU_DEP_4)
	v_add_f64 v[0:1], v[4:5], v[8:9]
	v_add_f64 v[4:5], v[4:5], -v[8:9]
	v_add_f64 v[8:9], v[112:113], v[120:121]
	v_add_f64 v[2:3], v[6:7], v[10:11]
	v_add_f64 v[6:7], v[6:7], -v[10:11]
	v_add_f64 v[10:11], v[114:115], v[122:123]
	s_delay_alu instid0(VALU_DEP_4) | instskip(NEXT) | instid1(VALU_DEP_2)
	v_fma_f64 v[43:44], v[8:9], -0.5, v[104:105]
	v_fma_f64 v[35:36], v[10:11], -0.5, v[106:107]
	s_delay_alu instid0(VALU_DEP_2) | instskip(NEXT) | instid1(VALU_DEP_2)
	v_fma_f64 v[25:26], v[41:42], s[10:11], v[43:44]
	v_fma_f64 v[8:9], v[33:34], s[4:5], v[35:36]
	;; [unrolled: 1-line block ×4, first 2 shown]
	s_delay_alu instid0(VALU_DEP_3) | instskip(SKIP_1) | instid1(VALU_DEP_2)
	v_mul_f64 v[10:11], v[8:9], s[10:11]
	v_mul_f64 v[8:9], v[8:9], 0.5
	v_fma_f64 v[27:28], v[25:26], 0.5, v[10:11]
	s_delay_alu instid0(VALU_DEP_2)
	v_fma_f64 v[45:46], v[25:26], s[4:5], v[8:9]
	v_fma_f64 v[25:26], v[37:38], s[10:11], v[29:30]
	;; [unrolled: 1-line block ×4, first 2 shown]
	v_mul_f64 v[31:32], v[33:34], s[10:11]
	v_mul_f64 v[33:34], v[33:34], -0.5
	v_add_f64 v[10:11], v[60:61], v[45:46]
	v_add_f64 v[8:9], v[25:26], v[27:28]
	v_add_f64 v[25:26], v[25:26], -v[27:28]
	v_add_f64 v[27:28], v[60:61], -v[45:46]
	v_fma_f64 v[39:40], v[29:30], -0.5, v[31:32]
	v_fma_f64 v[41:42], v[29:30], s[4:5], v[33:34]
	s_delay_alu instid0(VALU_DEP_2) | instskip(NEXT) | instid1(VALU_DEP_2)
	v_add_f64 v[29:30], v[35:36], v[39:40]
	v_add_f64 v[31:32], v[37:38], v[41:42]
	v_add_f64 v[33:34], v[35:36], -v[39:40]
	v_add_f64 v[35:36], v[37:38], -v[41:42]
	v_and_b32_e32 v37, 0xffff, v182
	v_lshlrev_b32_e32 v38, 4, v183
	v_add_f64 v[41:42], v[134:135], -v[142:143]
	v_add_f64 v[39:40], v[128:129], -v[136:137]
	s_delay_alu instid0(VALU_DEP_4) | instskip(NEXT) | instid1(VALU_DEP_1)
	v_mul_u32_u24_e32 v37, 0x3c0, v37
	v_add3_u32 v37, 0, v37, v38
	ds_store_b128 v37, v[0:3]
	ds_store_b128 v37, v[8:11] offset:160
	ds_store_b128 v37, v[29:32] offset:320
	;; [unrolled: 1-line block ×5, first 2 shown]
	v_add_f64 v[0:1], v[128:129], v[136:137]
	v_add_f64 v[2:3], v[49:50], v[130:131]
	v_add_f64 v[33:34], v[132:133], -v[140:141]
	v_add_f64 v[37:38], v[130:131], -v[138:139]
	s_delay_alu instid0(VALU_DEP_4) | instskip(SKIP_2) | instid1(VALU_DEP_2)
	v_fma_f64 v[29:30], v[0:1], -0.5, v[47:48]
	v_add_f64 v[0:1], v[130:131], v[138:139]
	v_add_f64 v[6:7], v[2:3], v[138:139]
	v_fma_f64 v[31:32], v[0:1], -0.5, v[49:50]
	v_add_f64 v[0:1], v[47:48], v[128:129]
	s_delay_alu instid0(VALU_DEP_2) | instskip(NEXT) | instid1(VALU_DEP_2)
	v_fma_f64 v[47:48], v[39:40], s[4:5], v[31:32]
	v_add_f64 v[4:5], v[0:1], v[136:137]
	v_add_f64 v[0:1], v[124:125], v[132:133]
	s_delay_alu instid0(VALU_DEP_1) | instskip(SKIP_1) | instid1(VALU_DEP_1)
	v_add_f64 v[8:9], v[0:1], v[140:141]
	v_add_f64 v[0:1], v[126:127], v[134:135]
	;; [unrolled: 1-line block ×3, first 2 shown]
	s_delay_alu instid0(VALU_DEP_3) | instskip(SKIP_2) | instid1(VALU_DEP_4)
	v_add_f64 v[0:1], v[4:5], v[8:9]
	v_add_f64 v[4:5], v[4:5], -v[8:9]
	v_add_f64 v[8:9], v[132:133], v[140:141]
	v_add_f64 v[2:3], v[6:7], v[10:11]
	v_add_f64 v[6:7], v[6:7], -v[10:11]
	v_add_f64 v[10:11], v[134:135], v[142:143]
	s_delay_alu instid0(VALU_DEP_4) | instskip(NEXT) | instid1(VALU_DEP_2)
	v_fma_f64 v[43:44], v[8:9], -0.5, v[124:125]
	v_fma_f64 v[35:36], v[10:11], -0.5, v[126:127]
	s_delay_alu instid0(VALU_DEP_2) | instskip(NEXT) | instid1(VALU_DEP_2)
	v_fma_f64 v[25:26], v[41:42], s[10:11], v[43:44]
	v_fma_f64 v[8:9], v[33:34], s[4:5], v[35:36]
	;; [unrolled: 1-line block ×4, first 2 shown]
	s_delay_alu instid0(VALU_DEP_3) | instskip(SKIP_1) | instid1(VALU_DEP_2)
	v_mul_f64 v[10:11], v[8:9], s[10:11]
	v_mul_f64 v[8:9], v[8:9], 0.5
	v_fma_f64 v[27:28], v[25:26], 0.5, v[10:11]
	s_delay_alu instid0(VALU_DEP_2)
	v_fma_f64 v[45:46], v[25:26], s[4:5], v[8:9]
	v_fma_f64 v[25:26], v[37:38], s[10:11], v[29:30]
	;; [unrolled: 1-line block ×4, first 2 shown]
	v_mul_f64 v[31:32], v[33:34], s[10:11]
	v_mul_f64 v[33:34], v[33:34], -0.5
	v_add_f64 v[43:44], v[148:149], -v[156:157]
	v_add_f64 v[10:11], v[47:48], v[45:46]
	v_add_f64 v[8:9], v[25:26], v[27:28]
	v_add_f64 v[25:26], v[25:26], -v[27:28]
	v_add_f64 v[27:28], v[47:48], -v[45:46]
	v_fma_f64 v[39:40], v[29:30], -0.5, v[31:32]
	v_fma_f64 v[41:42], v[29:30], s[4:5], v[33:34]
	v_add_f64 v[45:46], v[154:155], -v[158:159]
	s_delay_alu instid0(VALU_DEP_3) | instskip(NEXT) | instid1(VALU_DEP_3)
	v_add_f64 v[29:30], v[35:36], v[39:40]
	v_add_f64 v[31:32], v[37:38], v[41:42]
	v_add_f64 v[33:34], v[35:36], -v[39:40]
	v_add_f64 v[35:36], v[37:38], -v[41:42]
	v_and_b32_e32 v37, 0xffff, v184
	v_lshlrev_b32_e32 v38, 4, v185
	v_add_f64 v[41:42], v[150:151], -v[56:57]
	s_delay_alu instid0(VALU_DEP_3) | instskip(NEXT) | instid1(VALU_DEP_1)
	v_mul_u32_u24_e32 v37, 0x3c0, v37
	v_add3_u32 v37, 0, v37, v38
	ds_store_b128 v37, v[0:3]
	ds_store_b128 v37, v[8:11] offset:160
	ds_store_b128 v37, v[29:32] offset:320
	;; [unrolled: 1-line block ×5, first 2 shown]
	v_add_f64 v[0:1], v[148:149], v[156:157]
	v_add_f64 v[2:3], v[53:54], v[150:151]
	v_add_f64 v[37:38], v[152:153], -v[58:59]
	s_delay_alu instid0(VALU_DEP_3) | instskip(SKIP_1) | instid1(VALU_DEP_4)
	v_fma_f64 v[33:34], v[0:1], -0.5, v[51:52]
	v_add_f64 v[0:1], v[150:151], v[56:57]
	v_add_f64 v[6:7], v[2:3], v[56:57]
	s_delay_alu instid0(VALU_DEP_2) | instskip(SKIP_1) | instid1(VALU_DEP_2)
	v_fma_f64 v[35:36], v[0:1], -0.5, v[53:54]
	v_add_f64 v[0:1], v[51:52], v[148:149]
	v_fma_f64 v[55:56], v[43:44], s[4:5], v[35:36]
	s_delay_alu instid0(VALU_DEP_2) | instskip(SKIP_1) | instid1(VALU_DEP_1)
	v_add_f64 v[4:5], v[0:1], v[156:157]
	v_add_f64 v[0:1], v[144:145], v[152:153]
	;; [unrolled: 1-line block ×4, first 2 shown]
	s_delay_alu instid0(VALU_DEP_1) | instskip(NEXT) | instid1(VALU_DEP_3)
	v_add_f64 v[10:11], v[0:1], v[158:159]
	v_add_f64 v[0:1], v[4:5], v[8:9]
	v_add_f64 v[4:5], v[4:5], -v[8:9]
	v_add_f64 v[8:9], v[164:165], v[172:173]
	s_delay_alu instid0(VALU_DEP_4) | instskip(SKIP_2) | instid1(VALU_DEP_4)
	v_add_f64 v[2:3], v[6:7], v[10:11]
	v_add_f64 v[6:7], v[6:7], -v[10:11]
	v_add_f64 v[10:11], v[22:23], v[166:167]
	v_fma_f64 v[49:50], v[8:9], -0.5, v[20:21]
	v_add_f64 v[8:9], v[166:167], v[174:175]
	s_delay_alu instid0(VALU_DEP_1) | instskip(SKIP_2) | instid1(VALU_DEP_2)
	v_fma_f64 v[51:52], v[8:9], -0.5, v[22:23]
	v_add_f64 v[8:9], v[20:21], v[164:165]
	v_add_f64 v[22:23], v[10:11], v[174:175]
	v_add_f64 v[20:21], v[8:9], v[172:173]
	v_add_f64 v[8:9], v[160:161], v[168:169]
	s_delay_alu instid0(VALU_DEP_1) | instskip(SKIP_1) | instid1(VALU_DEP_1)
	v_add_f64 v[25:26], v[8:9], v[176:177]
	v_add_f64 v[8:9], v[162:163], v[170:171]
	v_add_f64 v[27:28], v[8:9], v[178:179]
	s_delay_alu instid0(VALU_DEP_3)
	v_add_f64 v[8:9], v[20:21], v[25:26]
	v_add_f64 v[25:26], v[20:21], -v[25:26]
	v_add_f64 v[20:21], v[152:153], v[58:59]
	v_add_f64 v[57:58], v[166:167], -v[174:175]
	v_add_f64 v[59:60], v[164:165], -v[172:173]
	v_add_f64 v[10:11], v[22:23], v[27:28]
	v_add_f64 v[27:28], v[22:23], -v[27:28]
	v_add_f64 v[22:23], v[154:155], v[158:159]
	v_fma_f64 v[47:48], v[20:21], -0.5, v[144:145]
	v_fma_f64 v[72:73], v[59:60], s[4:5], v[51:52]
	v_fma_f64 v[59:60], v[59:60], s[10:11], v[51:52]
	s_delay_alu instid0(VALU_DEP_4) | instskip(NEXT) | instid1(VALU_DEP_4)
	v_fma_f64 v[39:40], v[22:23], -0.5, v[146:147]
	v_fma_f64 v[29:30], v[45:46], s[10:11], v[47:48]
	s_delay_alu instid0(VALU_DEP_2) | instskip(SKIP_2) | instid1(VALU_DEP_3)
	v_fma_f64 v[20:21], v[37:38], s[4:5], v[39:40]
	v_fma_f64 v[37:38], v[37:38], s[10:11], v[39:40]
	;; [unrolled: 1-line block ×3, first 2 shown]
	v_mul_f64 v[22:23], v[20:21], s[10:11]
	v_mul_f64 v[20:21], v[20:21], 0.5
	s_delay_alu instid0(VALU_DEP_2) | instskip(NEXT) | instid1(VALU_DEP_2)
	v_fma_f64 v[31:32], v[29:30], 0.5, v[22:23]
	v_fma_f64 v[53:54], v[29:30], s[4:5], v[20:21]
	v_fma_f64 v[29:30], v[41:42], s[10:11], v[33:34]
	;; [unrolled: 1-line block ×4, first 2 shown]
	v_mul_f64 v[35:36], v[37:38], s[10:11]
	v_mul_f64 v[37:38], v[37:38], -0.5
	v_add_f64 v[22:23], v[55:56], v[53:54]
	v_add_f64 v[20:21], v[29:30], v[31:32]
	v_add_f64 v[29:30], v[29:30], -v[31:32]
	v_add_f64 v[31:32], v[55:56], -v[53:54]
	v_fma_f64 v[43:44], v[33:34], -0.5, v[35:36]
	v_fma_f64 v[45:46], v[33:34], s[4:5], v[37:38]
	v_add_f64 v[53:54], v[168:169], -v[176:177]
	s_delay_alu instid0(VALU_DEP_3)
	v_add_f64 v[33:34], v[39:40], v[43:44]
	v_add_f64 v[37:38], v[39:40], -v[43:44]
	v_add_f64 v[43:44], v[170:171], v[178:179]
	v_add_f64 v[35:36], v[41:42], v[45:46]
	v_add_f64 v[39:40], v[41:42], -v[45:46]
	v_add_f64 v[41:42], v[168:169], v[176:177]
	s_delay_alu instid0(VALU_DEP_4) | instskip(NEXT) | instid1(VALU_DEP_2)
	v_fma_f64 v[55:56], v[43:44], -0.5, v[162:163]
	v_fma_f64 v[68:69], v[41:42], -0.5, v[160:161]
	s_delay_alu instid0(VALU_DEP_2) | instskip(SKIP_1) | instid1(VALU_DEP_3)
	v_fma_f64 v[41:42], v[53:54], s[4:5], v[55:56]
	v_fma_f64 v[53:54], v[53:54], s[10:11], v[55:56]
	;; [unrolled: 1-line block ×4, first 2 shown]
	s_delay_alu instid0(VALU_DEP_4) | instskip(SKIP_2) | instid1(VALU_DEP_3)
	v_mul_f64 v[43:44], v[41:42], s[10:11]
	v_mul_f64 v[41:42], v[41:42], 0.5
	v_mul_f64 v[51:52], v[53:54], -0.5
	v_fma_f64 v[47:48], v[45:46], 0.5, v[43:44]
	s_delay_alu instid0(VALU_DEP_3) | instskip(SKIP_3) | instid1(VALU_DEP_4)
	v_fma_f64 v[70:71], v[45:46], s[4:5], v[41:42]
	v_fma_f64 v[45:46], v[57:58], s[10:11], v[49:50]
	v_fma_f64 v[57:58], v[57:58], s[4:5], v[49:50]
	v_mul_f64 v[49:50], v[53:54], s[10:11]
	v_add_f64 v[43:44], v[72:73], v[70:71]
	s_delay_alu instid0(VALU_DEP_4) | instskip(SKIP_1) | instid1(VALU_DEP_4)
	v_add_f64 v[41:42], v[45:46], v[47:48]
	v_add_f64 v[45:46], v[45:46], -v[47:48]
	v_fma_f64 v[53:54], v[55:56], -0.5, v[49:50]
	v_fma_f64 v[55:56], v[55:56], s[4:5], v[51:52]
	v_add_f64 v[47:48], v[72:73], -v[70:71]
	s_delay_alu instid0(VALU_DEP_3) | instskip(NEXT) | instid1(VALU_DEP_3)
	v_add_f64 v[49:50], v[57:58], v[53:54]
	v_add_f64 v[51:52], v[59:60], v[55:56]
	v_add_f64 v[53:54], v[57:58], -v[53:54]
	v_add_f64 v[55:56], v[59:60], -v[55:56]
	v_mul_u32_u24_e32 v57, 0x3c0, v186
	v_lshlrev_b32_e32 v58, 4, v187
	s_delay_alu instid0(VALU_DEP_1)
	v_add3_u32 v57, 0, v57, v58
	ds_store_b128 v57, v[0:3]
	ds_store_b128 v57, v[20:23] offset:160
	ds_store_b128 v57, v[33:36] offset:320
	;; [unrolled: 1-line block ×4, first 2 shown]
	v_mul_u32_u24_e32 v2, 5, v253
	v_mul_u32_u24_e32 v0, 0x3c0, v188
	v_lshlrev_b32_e32 v1, 4, v189
	s_delay_alu instid0(VALU_DEP_3) | instskip(NEXT) | instid1(VALU_DEP_2)
	v_lshlrev_b32_e32 v20, 4, v2
	v_add3_u32 v0, 0, v0, v1
	ds_store_b128 v57, v[37:40] offset:800
	ds_store_b128 v0, v[8:11]
	ds_store_b128 v0, v[41:44] offset:160
	ds_store_b128 v0, v[49:52] offset:320
	;; [unrolled: 1-line block ×5, first 2 shown]
	s_waitcnt lgkmcnt(0)
	s_barrier
	buffer_gl0_inv
	s_clause 0x1
	global_load_b128 v[0:3], v20, s[8:9] offset:800
	global_load_b128 v[4:7], v20, s[8:9] offset:816
	ds_load_b128 v[8:11], v210 offset:5760
	ds_load_b128 v[25:28], v210 offset:4800
	;; [unrolled: 1-line block ×4, first 2 shown]
	s_waitcnt vmcnt(1) lgkmcnt(3)
	v_mul_f64 v[21:22], v[10:11], v[2:3]
	v_mul_f64 v[37:38], v[8:9], v[2:3]
	s_waitcnt lgkmcnt(1)
	v_mul_f64 v[39:40], v[31:32], v[2:3]
	v_mul_f64 v[2:3], v[29:30], v[2:3]
	s_delay_alu instid0(VALU_DEP_4) | instskip(NEXT) | instid1(VALU_DEP_4)
	v_fma_f64 v[21:22], v[8:9], v[0:1], v[21:22]
	v_fma_f64 v[57:58], v[10:11], v[0:1], -v[37:38]
	s_delay_alu instid0(VALU_DEP_4) | instskip(NEXT) | instid1(VALU_DEP_4)
	v_fma_f64 v[59:60], v[29:30], v[0:1], v[39:40]
	v_fma_f64 v[74:75], v[31:32], v[0:1], -v[2:3]
	ds_load_b128 v[0:3], v210 offset:11520
	ds_load_b128 v[8:11], v210 offset:10560
	s_waitcnt vmcnt(0) lgkmcnt(1)
	v_mul_f64 v[29:30], v[2:3], v[6:7]
	s_delay_alu instid0(VALU_DEP_1) | instskip(SKIP_1) | instid1(VALU_DEP_1)
	v_fma_f64 v[76:77], v[0:1], v[4:5], v[29:30]
	v_mul_f64 v[0:1], v[0:1], v[6:7]
	v_fma_f64 v[78:79], v[2:3], v[4:5], -v[0:1]
	ds_load_b128 v[0:3], v210 offset:12480
	ds_load_b128 v[29:32], v210 offset:13440
	s_waitcnt lgkmcnt(1)
	v_mul_f64 v[37:38], v[2:3], v[6:7]
	s_delay_alu instid0(VALU_DEP_1) | instskip(SKIP_1) | instid1(VALU_DEP_1)
	v_fma_f64 v[80:81], v[0:1], v[4:5], v[37:38]
	v_mul_f64 v[0:1], v[0:1], v[6:7]
	v_fma_f64 v[82:83], v[2:3], v[4:5], -v[0:1]
	s_clause 0x1
	global_load_b128 v[0:3], v20, s[8:9] offset:832
	global_load_b128 v[4:7], v20, s[8:9] offset:848
	ds_load_b128 v[37:40], v210 offset:17280
	ds_load_b128 v[41:44], v210 offset:16320
	s_waitcnt vmcnt(1) lgkmcnt(1)
	v_mul_f64 v[45:46], v[39:40], v[2:3]
	s_delay_alu instid0(VALU_DEP_1) | instskip(SKIP_1) | instid1(VALU_DEP_1)
	v_fma_f64 v[84:85], v[37:38], v[0:1], v[45:46]
	v_mul_f64 v[37:38], v[37:38], v[2:3]
	v_fma_f64 v[86:87], v[39:40], v[0:1], -v[37:38]
	ds_load_b128 v[37:40], v210 offset:18240
	ds_load_b128 v[45:48], v210 offset:19200
	s_waitcnt lgkmcnt(1)
	v_mul_f64 v[49:50], v[39:40], v[2:3]
	v_mul_f64 v[2:3], v[37:38], v[2:3]
	s_delay_alu instid0(VALU_DEP_2) | instskip(NEXT) | instid1(VALU_DEP_2)
	v_fma_f64 v[88:89], v[37:38], v[0:1], v[49:50]
	v_fma_f64 v[90:91], v[39:40], v[0:1], -v[2:3]
	ds_load_b128 v[0:3], v210 offset:23040
	ds_load_b128 v[37:40], v210 offset:22080
	s_waitcnt vmcnt(0) lgkmcnt(1)
	v_mul_f64 v[49:50], v[2:3], v[6:7]
	s_delay_alu instid0(VALU_DEP_1) | instskip(SKIP_1) | instid1(VALU_DEP_1)
	v_fma_f64 v[92:93], v[0:1], v[4:5], v[49:50]
	v_mul_f64 v[0:1], v[0:1], v[6:7]
	v_fma_f64 v[94:95], v[2:3], v[4:5], -v[0:1]
	ds_load_b128 v[0:3], v210 offset:24000
	ds_load_b128 v[49:52], v210 offset:24960
	s_waitcnt lgkmcnt(1)
	v_mul_f64 v[53:54], v[2:3], v[6:7]
	s_delay_alu instid0(VALU_DEP_1) | instskip(SKIP_1) | instid1(VALU_DEP_1)
	v_fma_f64 v[96:97], v[0:1], v[4:5], v[53:54]
	v_mul_f64 v[0:1], v[0:1], v[6:7]
	v_fma_f64 v[98:99], v[2:3], v[4:5], -v[0:1]
	v_mul_lo_u16 v0, 0x89, v19
	s_delay_alu instid0(VALU_DEP_1) | instskip(NEXT) | instid1(VALU_DEP_1)
	v_lshrrev_b16 v0, 13, v0
	v_mul_lo_u16 v0, v0, 60
	s_delay_alu instid0(VALU_DEP_1) | instskip(NEXT) | instid1(VALU_DEP_1)
	v_sub_nc_u16 v0, v17, v0
	v_and_b32_e32 v23, 0xff, v0
	s_delay_alu instid0(VALU_DEP_1) | instskip(NEXT) | instid1(VALU_DEP_1)
	v_mul_u32_u24_e32 v0, 5, v23
	v_lshlrev_b32_e32 v17, 4, v0
	s_clause 0x1
	global_load_b128 v[0:3], v20, s[8:9] offset:864
	global_load_b128 v[4:7], v17, s[8:9] offset:800
	ds_load_b128 v[53:56], v210 offset:28800
	ds_load_b128 v[66:69], v210 offset:27840
	s_waitcnt vmcnt(1) lgkmcnt(1)
	v_mul_f64 v[70:71], v[55:56], v[2:3]
	s_delay_alu instid0(VALU_DEP_1) | instskip(SKIP_1) | instid1(VALU_DEP_1)
	v_fma_f64 v[100:101], v[53:54], v[0:1], v[70:71]
	v_mul_f64 v[53:54], v[53:54], v[2:3]
	v_fma_f64 v[102:103], v[55:56], v[0:1], -v[53:54]
	ds_load_b128 v[53:56], v210 offset:29760
	ds_load_b128 v[70:73], v210 offset:30720
	s_waitcnt lgkmcnt(1)
	v_mul_f64 v[104:105], v[55:56], v[2:3]
	v_mul_f64 v[2:3], v[53:54], v[2:3]
	s_delay_alu instid0(VALU_DEP_2) | instskip(NEXT) | instid1(VALU_DEP_2)
	v_fma_f64 v[104:105], v[53:54], v[0:1], v[104:105]
	v_fma_f64 v[106:107], v[55:56], v[0:1], -v[2:3]
	s_waitcnt vmcnt(0)
	v_mul_f64 v[0:1], v[35:36], v[6:7]
	s_delay_alu instid0(VALU_DEP_1) | instskip(SKIP_1) | instid1(VALU_DEP_1)
	v_fma_f64 v[108:109], v[33:34], v[4:5], v[0:1]
	v_mul_f64 v[0:1], v[33:34], v[6:7]
	v_fma_f64 v[110:111], v[35:36], v[4:5], -v[0:1]
	s_clause 0x1
	global_load_b128 v[0:3], v17, s[8:9] offset:816
	global_load_b128 v[4:7], v17, s[8:9] offset:832
	s_waitcnt vmcnt(1)
	v_mul_f64 v[33:34], v[31:32], v[2:3]
	v_mul_f64 v[2:3], v[29:30], v[2:3]
	s_delay_alu instid0(VALU_DEP_2) | instskip(NEXT) | instid1(VALU_DEP_2)
	v_fma_f64 v[112:113], v[29:30], v[0:1], v[33:34]
	v_fma_f64 v[114:115], v[31:32], v[0:1], -v[2:3]
	s_waitcnt vmcnt(0)
	v_mul_f64 v[0:1], v[47:48], v[6:7]
	s_delay_alu instid0(VALU_DEP_1) | instskip(SKIP_1) | instid1(VALU_DEP_1)
	v_fma_f64 v[116:117], v[45:46], v[4:5], v[0:1]
	v_mul_f64 v[0:1], v[45:46], v[6:7]
	v_fma_f64 v[118:119], v[47:48], v[4:5], -v[0:1]
	s_clause 0x1
	global_load_b128 v[0:3], v17, s[8:9] offset:848
	global_load_b128 v[4:7], v17, s[8:9] offset:864
	s_waitcnt vmcnt(1)
	v_mul_f64 v[29:30], v[51:52], v[2:3]
	v_mul_f64 v[2:3], v[49:50], v[2:3]
	s_delay_alu instid0(VALU_DEP_2) | instskip(NEXT) | instid1(VALU_DEP_2)
	v_fma_f64 v[120:121], v[49:50], v[0:1], v[29:30]
	v_fma_f64 v[122:123], v[51:52], v[0:1], -v[2:3]
	s_waitcnt vmcnt(0) lgkmcnt(0)
	v_mul_f64 v[0:1], v[72:73], v[6:7]
	s_delay_alu instid0(VALU_DEP_1) | instskip(SKIP_1) | instid1(VALU_DEP_1)
	v_fma_f64 v[124:125], v[70:71], v[4:5], v[0:1]
	v_mul_f64 v[0:1], v[70:71], v[6:7]
	v_fma_f64 v[126:127], v[72:73], v[4:5], -v[0:1]
	v_mul_lo_u16 v0, 0x89, v14
	v_add_f64 v[72:73], v[82:83], -v[98:99]
	s_delay_alu instid0(VALU_DEP_2) | instskip(NEXT) | instid1(VALU_DEP_1)
	v_lshrrev_b16 v0, 13, v0
	v_mul_lo_u16 v0, v0, 60
	s_delay_alu instid0(VALU_DEP_1) | instskip(NEXT) | instid1(VALU_DEP_1)
	v_sub_nc_u16 v0, v12, v0
	v_and_b32_e32 v61, 0xff, v0
	s_delay_alu instid0(VALU_DEP_1) | instskip(NEXT) | instid1(VALU_DEP_1)
	v_mul_u32_u24_e32 v0, 5, v61
	v_lshlrev_b32_e32 v12, 4, v0
	s_clause 0x1
	global_load_b128 v[0:3], v12, s[8:9] offset:800
	global_load_b128 v[4:7], v12, s[8:9] offset:816
	ds_load_b128 v[29:32], v210 offset:8640
	ds_load_b128 v[33:36], v210 offset:9600
	s_waitcnt vmcnt(1) lgkmcnt(1)
	v_mul_f64 v[45:46], v[31:32], v[2:3]
	v_mul_f64 v[2:3], v[29:30], v[2:3]
	s_delay_alu instid0(VALU_DEP_2) | instskip(NEXT) | instid1(VALU_DEP_2)
	v_fma_f64 v[128:129], v[29:30], v[0:1], v[45:46]
	v_fma_f64 v[130:131], v[31:32], v[0:1], -v[2:3]
	ds_load_b128 v[0:3], v210 offset:14400
	ds_load_b128 v[29:32], v210 offset:15360
	s_waitcnt vmcnt(0) lgkmcnt(1)
	v_mul_f64 v[45:46], v[2:3], v[6:7]
	s_delay_alu instid0(VALU_DEP_1) | instskip(SKIP_1) | instid1(VALU_DEP_1)
	v_fma_f64 v[132:133], v[0:1], v[4:5], v[45:46]
	v_mul_f64 v[0:1], v[0:1], v[6:7]
	v_fma_f64 v[134:135], v[2:3], v[4:5], -v[0:1]
	s_clause 0x1
	global_load_b128 v[0:3], v12, s[8:9] offset:832
	global_load_b128 v[4:7], v12, s[8:9] offset:848
	ds_load_b128 v[45:48], v210 offset:20160
	ds_load_b128 v[49:52], v210 offset:21120
	s_waitcnt vmcnt(1) lgkmcnt(1)
	v_mul_f64 v[53:54], v[47:48], v[2:3]
	v_mul_f64 v[2:3], v[45:46], v[2:3]
	s_delay_alu instid0(VALU_DEP_2) | instskip(NEXT) | instid1(VALU_DEP_2)
	v_fma_f64 v[136:137], v[45:46], v[0:1], v[53:54]
	v_fma_f64 v[138:139], v[47:48], v[0:1], -v[2:3]
	ds_load_b128 v[0:3], v210 offset:25920
	ds_load_b128 v[45:48], v210 offset:26880
	s_waitcnt vmcnt(0) lgkmcnt(1)
	v_mul_f64 v[53:54], v[2:3], v[6:7]
	s_delay_alu instid0(VALU_DEP_1) | instskip(SKIP_1) | instid1(VALU_DEP_1)
	v_fma_f64 v[140:141], v[0:1], v[4:5], v[53:54]
	v_mul_f64 v[0:1], v[0:1], v[6:7]
	v_fma_f64 v[142:143], v[2:3], v[4:5], -v[0:1]
	v_mul_u32_u24_e32 v0, 0x8889, v18
	s_delay_alu instid0(VALU_DEP_1) | instskip(NEXT) | instid1(VALU_DEP_1)
	v_lshrrev_b32_e32 v0, 21, v0
	v_mul_lo_u16 v0, v0, 60
	s_delay_alu instid0(VALU_DEP_1) | instskip(NEXT) | instid1(VALU_DEP_1)
	v_sub_nc_u16 v0, v16, v0
	v_and_b32_e32 v192, 0xffff, v0
	s_delay_alu instid0(VALU_DEP_1) | instskip(NEXT) | instid1(VALU_DEP_1)
	v_mul_u32_u24_e32 v0, 5, v192
	v_lshlrev_b32_e32 v14, 4, v0
	s_clause 0x1
	global_load_b128 v[0:3], v12, s[8:9] offset:864
	global_load_b128 v[4:7], v14, s[8:9] offset:800
	ds_load_b128 v[16:19], v210 offset:31680
	ds_load_b128 v[53:56], v210 offset:32640
	s_waitcnt vmcnt(1) lgkmcnt(1)
	v_mul_f64 v[70:71], v[18:19], v[2:3]
	v_mul_f64 v[2:3], v[16:17], v[2:3]
	s_delay_alu instid0(VALU_DEP_2) | instskip(NEXT) | instid1(VALU_DEP_2)
	v_fma_f64 v[144:145], v[16:17], v[0:1], v[70:71]
	v_fma_f64 v[146:147], v[18:19], v[0:1], -v[2:3]
	s_waitcnt vmcnt(0)
	v_mul_f64 v[0:1], v[35:36], v[6:7]
	s_delay_alu instid0(VALU_DEP_1) | instskip(SKIP_1) | instid1(VALU_DEP_1)
	v_fma_f64 v[148:149], v[33:34], v[4:5], v[0:1]
	v_mul_f64 v[0:1], v[33:34], v[6:7]
	v_fma_f64 v[150:151], v[35:36], v[4:5], -v[0:1]
	s_clause 0x1
	global_load_b128 v[0:3], v14, s[8:9] offset:816
	global_load_b128 v[4:7], v14, s[8:9] offset:832
	s_waitcnt vmcnt(1)
	v_mul_f64 v[16:17], v[31:32], v[2:3]
	v_mul_f64 v[2:3], v[29:30], v[2:3]
	s_delay_alu instid0(VALU_DEP_2) | instskip(NEXT) | instid1(VALU_DEP_2)
	v_fma_f64 v[152:153], v[29:30], v[0:1], v[16:17]
	v_fma_f64 v[154:155], v[31:32], v[0:1], -v[2:3]
	s_waitcnt vmcnt(0)
	v_mul_f64 v[0:1], v[51:52], v[6:7]
	s_delay_alu instid0(VALU_DEP_1) | instskip(SKIP_2) | instid1(VALU_DEP_2)
	v_fma_f64 v[156:157], v[49:50], v[4:5], v[0:1]
	v_mul_f64 v[0:1], v[49:50], v[6:7]
	v_add_f64 v[49:50], v[78:79], -v[94:95]
	v_fma_f64 v[158:159], v[51:52], v[4:5], -v[0:1]
	s_clause 0x1
	global_load_b128 v[0:3], v14, s[8:9] offset:848
	global_load_b128 v[4:7], v14, s[8:9] offset:864
	v_add_f64 v[51:52], v[76:77], -v[92:93]
	s_waitcnt vmcnt(1)
	v_mul_f64 v[16:17], v[47:48], v[2:3]
	v_mul_f64 v[2:3], v[45:46], v[2:3]
	s_delay_alu instid0(VALU_DEP_2) | instskip(NEXT) | instid1(VALU_DEP_2)
	v_fma_f64 v[160:161], v[45:46], v[0:1], v[16:17]
	v_fma_f64 v[162:163], v[47:48], v[0:1], -v[2:3]
	s_waitcnt vmcnt(0) lgkmcnt(0)
	v_mul_f64 v[0:1], v[55:56], v[6:7]
	v_add_f64 v[16:17], v[80:81], v[96:97]
	v_add_f64 v[45:46], v[84:85], -v[100:101]
	s_delay_alu instid0(VALU_DEP_3) | instskip(SKIP_2) | instid1(VALU_DEP_2)
	v_fma_f64 v[164:165], v[53:54], v[4:5], v[0:1]
	v_mul_f64 v[0:1], v[53:54], v[6:7]
	v_add_f64 v[53:54], v[86:87], -v[102:103]
	v_fma_f64 v[166:167], v[55:56], v[4:5], -v[0:1]
	v_mul_u32_u24_e32 v0, 0x8889, v15
	s_delay_alu instid0(VALU_DEP_1) | instskip(NEXT) | instid1(VALU_DEP_1)
	v_lshrrev_b32_e32 v0, 21, v0
	v_mul_lo_u16 v0, v0, 60
	s_delay_alu instid0(VALU_DEP_1) | instskip(NEXT) | instid1(VALU_DEP_1)
	v_sub_nc_u16 v0, v13, v0
	v_and_b32_e32 v193, 0xffff, v0
	s_delay_alu instid0(VALU_DEP_1) | instskip(NEXT) | instid1(VALU_DEP_1)
	v_mul_u32_u24_e32 v0, 5, v193
	v_lshlrev_b32_e32 v14, 4, v0
	s_clause 0x1
	global_load_b128 v[0:3], v14, s[8:9] offset:800
	global_load_b128 v[4:7], v14, s[8:9] offset:816
	s_waitcnt vmcnt(1)
	v_mul_f64 v[12:13], v[10:11], v[2:3]
	v_mul_f64 v[2:3], v[8:9], v[2:3]
	s_delay_alu instid0(VALU_DEP_2) | instskip(NEXT) | instid1(VALU_DEP_2)
	v_fma_f64 v[168:169], v[8:9], v[0:1], v[12:13]
	v_fma_f64 v[170:171], v[10:11], v[0:1], -v[2:3]
	s_waitcnt vmcnt(0)
	v_mul_f64 v[0:1], v[43:44], v[6:7]
	s_delay_alu instid0(VALU_DEP_1) | instskip(SKIP_1) | instid1(VALU_DEP_1)
	v_fma_f64 v[172:173], v[41:42], v[4:5], v[0:1]
	v_mul_f64 v[0:1], v[41:42], v[6:7]
	v_fma_f64 v[174:175], v[43:44], v[4:5], -v[0:1]
	s_clause 0x1
	global_load_b128 v[0:3], v14, s[8:9] offset:832
	global_load_b128 v[4:7], v14, s[8:9] offset:848
	s_waitcnt vmcnt(1)
	v_mul_f64 v[8:9], v[39:40], v[2:3]
	v_mul_f64 v[2:3], v[37:38], v[2:3]
	s_delay_alu instid0(VALU_DEP_2) | instskip(NEXT) | instid1(VALU_DEP_2)
	v_fma_f64 v[176:177], v[37:38], v[0:1], v[8:9]
	v_fma_f64 v[178:179], v[39:40], v[0:1], -v[2:3]
	s_waitcnt vmcnt(0)
	v_mul_f64 v[0:1], v[68:69], v[6:7]
	s_delay_alu instid0(VALU_DEP_1) | instskip(SKIP_1) | instid1(VALU_DEP_1)
	v_fma_f64 v[180:181], v[66:67], v[4:5], v[0:1]
	v_mul_f64 v[0:1], v[66:67], v[6:7]
	v_fma_f64 v[182:183], v[68:69], v[4:5], -v[0:1]
	global_load_b128 v[0:3], v14, s[8:9] offset:864
	ds_load_b128 v[4:7], v210 offset:33600
	ds_load_b128 v[8:11], v210
	s_waitcnt vmcnt(0) lgkmcnt(1)
	v_mul_f64 v[12:13], v[6:7], v[2:3]
	v_mul_f64 v[2:3], v[4:5], v[2:3]
	s_delay_alu instid0(VALU_DEP_2) | instskip(NEXT) | instid1(VALU_DEP_2)
	v_fma_f64 v[184:185], v[4:5], v[0:1], v[12:13]
	v_fma_f64 v[186:187], v[6:7], v[0:1], -v[2:3]
	v_add_f64 v[0:1], v[76:77], v[92:93]
	s_waitcnt lgkmcnt(0)
	v_add_f64 v[2:3], v[10:11], v[78:79]
	s_delay_alu instid0(VALU_DEP_2) | instskip(SKIP_1) | instid1(VALU_DEP_3)
	v_fma_f64 v[41:42], v[0:1], -0.5, v[8:9]
	v_add_f64 v[0:1], v[78:79], v[94:95]
	v_add_f64 v[6:7], v[2:3], v[94:95]
	s_delay_alu instid0(VALU_DEP_2) | instskip(SKIP_2) | instid1(VALU_DEP_2)
	v_fma_f64 v[43:44], v[0:1], -0.5, v[10:11]
	v_add_f64 v[0:1], v[8:9], v[76:77]
	v_add_f64 v[76:77], v[90:91], -v[106:107]
	v_add_f64 v[4:5], v[0:1], v[92:93]
	v_add_f64 v[0:1], v[21:22], v[84:85]
	s_delay_alu instid0(VALU_DEP_1) | instskip(SKIP_1) | instid1(VALU_DEP_1)
	v_add_f64 v[8:9], v[0:1], v[100:101]
	v_add_f64 v[0:1], v[57:58], v[86:87]
	;; [unrolled: 1-line block ×3, first 2 shown]
	s_delay_alu instid0(VALU_DEP_3) | instskip(SKIP_1) | instid1(VALU_DEP_3)
	v_add_f64 v[0:1], v[4:5], v[8:9]
	v_add_f64 v[4:5], v[4:5], -v[8:9]
	v_add_f64 v[2:3], v[6:7], v[10:11]
	v_add_f64 v[6:7], v[6:7], -v[10:11]
	ds_load_b128 v[8:11], v210 offset:960
	ds_load_b128 v[12:15], v210 offset:1920
	s_waitcnt lgkmcnt(1)
	v_fma_f64 v[66:67], v[16:17], -0.5, v[8:9]
	v_add_f64 v[16:17], v[82:83], v[98:99]
	v_add_f64 v[8:9], v[8:9], v[80:81]
	s_delay_alu instid0(VALU_DEP_2) | instskip(NEXT) | instid1(VALU_DEP_2)
	v_fma_f64 v[68:69], v[16:17], -0.5, v[10:11]
	v_add_f64 v[16:17], v[8:9], v[96:97]
	v_add_f64 v[8:9], v[59:60], v[88:89]
	;; [unrolled: 1-line block ×3, first 2 shown]
	v_add_f64 v[82:83], v[114:115], -v[122:123]
	s_delay_alu instid0(VALU_DEP_3) | instskip(SKIP_1) | instid1(VALU_DEP_4)
	v_add_f64 v[29:30], v[8:9], v[104:105]
	v_add_f64 v[8:9], v[74:75], v[90:91]
	;; [unrolled: 1-line block ×3, first 2 shown]
	s_delay_alu instid0(VALU_DEP_2) | instskip(NEXT) | instid1(VALU_DEP_4)
	v_add_f64 v[31:32], v[8:9], v[106:107]
	v_add_f64 v[8:9], v[16:17], v[29:30]
	v_add_f64 v[16:17], v[16:17], -v[29:30]
	v_add_f64 v[29:30], v[112:113], v[120:121]
	s_delay_alu instid0(VALU_DEP_4) | instskip(SKIP_2) | instid1(VALU_DEP_3)
	v_add_f64 v[10:11], v[18:19], v[31:32]
	v_add_f64 v[18:19], v[18:19], -v[31:32]
	s_waitcnt lgkmcnt(0)
	v_fma_f64 v[188:189], v[29:30], -0.5, v[12:13]
	v_add_f64 v[29:30], v[114:115], v[122:123]
	v_add_f64 v[12:13], v[12:13], v[112:113]
	s_delay_alu instid0(VALU_DEP_2) | instskip(NEXT) | instid1(VALU_DEP_2)
	v_fma_f64 v[190:191], v[29:30], -0.5, v[14:15]
	v_add_f64 v[29:30], v[12:13], v[120:121]
	v_add_f64 v[12:13], v[108:109], v[116:117]
	;; [unrolled: 1-line block ×3, first 2 shown]
	s_delay_alu instid0(VALU_DEP_2) | instskip(SKIP_1) | instid1(VALU_DEP_3)
	v_add_f64 v[33:34], v[12:13], v[124:125]
	v_add_f64 v[12:13], v[110:111], v[118:119]
	;; [unrolled: 1-line block ×3, first 2 shown]
	s_delay_alu instid0(VALU_DEP_2) | instskip(NEXT) | instid1(VALU_DEP_4)
	v_add_f64 v[35:36], v[12:13], v[126:127]
	v_add_f64 v[12:13], v[29:30], v[33:34]
	v_add_f64 v[29:30], v[29:30], -v[33:34]
	v_add_f64 v[33:34], v[84:85], v[100:101]
	v_add_f64 v[84:85], v[112:113], -v[120:121]
	;; [unrolled: 2-line block ×3, first 2 shown]
	v_add_f64 v[35:36], v[86:87], v[102:103]
	v_fma_f64 v[21:22], v[33:34], -0.5, v[21:22]
	v_add_f64 v[86:87], v[118:119], -v[126:127]
	s_delay_alu instid0(VALU_DEP_3) | instskip(NEXT) | instid1(VALU_DEP_3)
	v_fma_f64 v[47:48], v[35:36], -0.5, v[57:58]
	v_fma_f64 v[37:38], v[53:54], s[10:11], v[21:22]
	v_fma_f64 v[57:58], v[51:52], s[4:5], v[43:44]
	;; [unrolled: 1-line block ×3, first 2 shown]
	s_delay_alu instid0(VALU_DEP_4) | instskip(SKIP_2) | instid1(VALU_DEP_3)
	v_fma_f64 v[33:34], v[45:46], s[4:5], v[47:48]
	v_fma_f64 v[45:46], v[45:46], s[10:11], v[47:48]
	;; [unrolled: 1-line block ×3, first 2 shown]
	v_mul_f64 v[35:36], v[33:34], s[10:11]
	v_mul_f64 v[33:34], v[33:34], 0.5
	s_delay_alu instid0(VALU_DEP_2) | instskip(NEXT) | instid1(VALU_DEP_2)
	v_fma_f64 v[39:40], v[37:38], 0.5, v[35:36]
	v_fma_f64 v[55:56], v[37:38], s[4:5], v[33:34]
	v_fma_f64 v[37:38], v[49:50], s[10:11], v[41:42]
	;; [unrolled: 1-line block ×3, first 2 shown]
	v_mul_f64 v[41:42], v[45:46], s[10:11]
	v_mul_f64 v[43:44], v[45:46], -0.5
	v_add_f64 v[35:36], v[57:58], v[55:56]
	v_add_f64 v[33:34], v[37:38], v[39:40]
	v_add_f64 v[37:38], v[37:38], -v[39:40]
	v_fma_f64 v[45:46], v[21:22], -0.5, v[41:42]
	v_fma_f64 v[21:22], v[21:22], s[4:5], v[43:44]
	v_add_f64 v[39:40], v[57:58], -v[55:56]
	v_add_f64 v[57:58], v[88:89], -v[104:105]
	s_delay_alu instid0(VALU_DEP_4) | instskip(NEXT) | instid1(VALU_DEP_4)
	v_add_f64 v[41:42], v[47:48], v[45:46]
	v_add_f64 v[43:44], v[49:50], v[21:22]
	v_add_f64 v[45:46], v[47:48], -v[45:46]
	v_add_f64 v[47:48], v[49:50], -v[21:22]
	v_add_f64 v[49:50], v[90:91], v[106:107]
	v_add_f64 v[21:22], v[88:89], v[104:105]
	v_fma_f64 v[90:91], v[84:85], s[4:5], v[190:191]
	s_delay_alu instid0(VALU_DEP_3) | instskip(NEXT) | instid1(VALU_DEP_3)
	v_fma_f64 v[70:71], v[49:50], -0.5, v[74:75]
	v_fma_f64 v[21:22], v[21:22], -0.5, v[59:60]
	v_add_f64 v[74:75], v[80:81], -v[96:97]
	s_delay_alu instid0(VALU_DEP_3) | instskip(NEXT) | instid1(VALU_DEP_3)
	v_fma_f64 v[49:50], v[57:58], s[4:5], v[70:71]
	v_fma_f64 v[53:54], v[76:77], s[10:11], v[21:22]
	s_delay_alu instid0(VALU_DEP_3) | instskip(SKIP_4) | instid1(VALU_DEP_2)
	v_fma_f64 v[78:79], v[74:75], s[4:5], v[68:69]
	v_fma_f64 v[57:58], v[57:58], s[10:11], v[70:71]
	;; [unrolled: 1-line block ×3, first 2 shown]
	v_mul_f64 v[51:52], v[49:50], s[10:11]
	v_mul_f64 v[49:50], v[49:50], 0.5
	v_fma_f64 v[55:56], v[53:54], 0.5, v[51:52]
	s_delay_alu instid0(VALU_DEP_2) | instskip(SKIP_1) | instid1(VALU_DEP_2)
	v_fma_f64 v[59:60], v[53:54], s[4:5], v[49:50]
	v_fma_f64 v[53:54], v[72:73], s[10:11], v[66:67]
	v_add_f64 v[51:52], v[78:79], v[59:60]
	s_delay_alu instid0(VALU_DEP_2)
	v_add_f64 v[49:50], v[53:54], v[55:56]
	v_add_f64 v[53:54], v[53:54], -v[55:56]
	v_add_f64 v[55:56], v[78:79], -v[59:60]
	v_fma_f64 v[59:60], v[72:73], s[4:5], v[66:67]
	v_mul_f64 v[66:67], v[57:58], s[10:11]
	v_mul_f64 v[57:58], v[57:58], -0.5
	v_fma_f64 v[72:73], v[74:75], s[10:11], v[68:69]
	s_delay_alu instid0(VALU_DEP_3) | instskip(NEXT) | instid1(VALU_DEP_3)
	v_fma_f64 v[70:71], v[21:22], -0.5, v[66:67]
	v_fma_f64 v[21:22], v[21:22], s[4:5], v[57:58]
	v_add_f64 v[57:58], v[116:117], -v[124:125]
	s_delay_alu instid0(VALU_DEP_3)
	v_add_f64 v[66:67], v[59:60], v[70:71]
	v_add_f64 v[70:71], v[59:60], -v[70:71]
	v_add_f64 v[59:60], v[118:119], v[126:127]
	v_add_f64 v[68:69], v[72:73], v[21:22]
	v_add_f64 v[72:73], v[72:73], -v[21:22]
	v_add_f64 v[21:22], v[116:117], v[124:125]
	s_delay_alu instid0(VALU_DEP_4) | instskip(NEXT) | instid1(VALU_DEP_2)
	v_fma_f64 v[59:60], v[59:60], -0.5, v[110:111]
	v_fma_f64 v[21:22], v[21:22], -0.5, v[108:109]
	s_delay_alu instid0(VALU_DEP_2) | instskip(SKIP_2) | instid1(VALU_DEP_4)
	v_fma_f64 v[74:75], v[57:58], s[4:5], v[59:60]
	v_fma_f64 v[57:58], v[57:58], s[10:11], v[59:60]
	;; [unrolled: 1-line block ×5, first 2 shown]
	v_mul_f64 v[76:77], v[74:75], s[10:11]
	v_mul_f64 v[74:75], v[74:75], 0.5
	s_delay_alu instid0(VALU_DEP_2) | instskip(NEXT) | instid1(VALU_DEP_2)
	v_fma_f64 v[80:81], v[78:79], 0.5, v[76:77]
	v_fma_f64 v[88:89], v[78:79], s[4:5], v[74:75]
	v_fma_f64 v[78:79], v[82:83], s[10:11], v[188:189]
	v_mul_f64 v[82:83], v[57:58], s[10:11]
	v_mul_f64 v[57:58], v[57:58], -0.5
	s_delay_alu instid0(VALU_DEP_4) | instskip(NEXT) | instid1(VALU_DEP_4)
	v_add_f64 v[76:77], v[90:91], v[88:89]
	v_add_f64 v[74:75], v[78:79], v[80:81]
	v_add_f64 v[78:79], v[78:79], -v[80:81]
	v_add_f64 v[80:81], v[90:91], -v[88:89]
	v_fma_f64 v[88:89], v[84:85], s[10:11], v[190:191]
	v_fma_f64 v[86:87], v[21:22], -0.5, v[82:83]
	v_fma_f64 v[21:22], v[21:22], s[4:5], v[57:58]
	ds_load_b128 v[90:93], v210 offset:2880
	ds_load_b128 v[94:97], v210 offset:3840
	s_waitcnt lgkmcnt(0)
	s_barrier
	buffer_gl0_inv
	ds_store_b128 v210, v[0:3]
	ds_store_b128 v210, v[33:36] offset:960
	ds_store_b128 v210, v[4:7] offset:2880
	;; [unrolled: 1-line block ×11, first 2 shown]
	v_lshl_add_u32 v0, v23, 4, 0
	v_add_f64 v[35:36], v[138:139], -v[146:147]
	v_add_f64 v[33:34], v[132:133], -v[140:141]
	;; [unrolled: 1-line block ×5, first 2 shown]
	v_add_f64 v[2:3], v[92:93], v[134:135]
	v_add_f64 v[82:83], v[59:60], v[86:87]
	;; [unrolled: 1-line block ×3, first 2 shown]
	v_add_f64 v[86:87], v[59:60], -v[86:87]
	v_add_f64 v[88:89], v[88:89], -v[21:22]
	ds_store_b128 v0, v[12:15] offset:11520
	ds_store_b128 v0, v[74:77] offset:12480
	;; [unrolled: 1-line block ×6, first 2 shown]
	v_add_f64 v[0:1], v[132:133], v[140:141]
	v_add_f64 v[6:7], v[2:3], v[142:143]
	v_add_f64 v[21:22], v[136:137], -v[144:145]
	v_add_f64 v[31:32], v[134:135], -v[142:143]
	s_delay_alu instid0(VALU_DEP_4) | instskip(SKIP_1) | instid1(VALU_DEP_1)
	v_fma_f64 v[16:17], v[0:1], -0.5, v[90:91]
	v_add_f64 v[0:1], v[134:135], v[142:143]
	v_fma_f64 v[18:19], v[0:1], -0.5, v[92:93]
	v_add_f64 v[0:1], v[90:91], v[132:133]
	s_delay_alu instid0(VALU_DEP_2) | instskip(NEXT) | instid1(VALU_DEP_2)
	v_fma_f64 v[41:42], v[33:34], s[4:5], v[18:19]
	v_add_f64 v[4:5], v[0:1], v[140:141]
	v_add_f64 v[0:1], v[128:129], v[136:137]
	s_delay_alu instid0(VALU_DEP_1) | instskip(SKIP_1) | instid1(VALU_DEP_1)
	v_add_f64 v[8:9], v[0:1], v[144:145]
	v_add_f64 v[0:1], v[130:131], v[138:139]
	;; [unrolled: 1-line block ×3, first 2 shown]
	s_delay_alu instid0(VALU_DEP_3) | instskip(SKIP_2) | instid1(VALU_DEP_4)
	v_add_f64 v[0:1], v[4:5], v[8:9]
	v_add_f64 v[4:5], v[4:5], -v[8:9]
	v_add_f64 v[8:9], v[136:137], v[144:145]
	v_add_f64 v[2:3], v[6:7], v[10:11]
	v_add_f64 v[6:7], v[6:7], -v[10:11]
	v_add_f64 v[10:11], v[138:139], v[146:147]
	s_delay_alu instid0(VALU_DEP_4) | instskip(NEXT) | instid1(VALU_DEP_2)
	v_fma_f64 v[37:38], v[8:9], -0.5, v[128:129]
	v_fma_f64 v[29:30], v[10:11], -0.5, v[130:131]
	s_delay_alu instid0(VALU_DEP_2) | instskip(NEXT) | instid1(VALU_DEP_2)
	v_fma_f64 v[12:13], v[35:36], s[10:11], v[37:38]
	v_fma_f64 v[8:9], v[21:22], s[4:5], v[29:30]
	;; [unrolled: 1-line block ×4, first 2 shown]
	s_delay_alu instid0(VALU_DEP_3) | instskip(SKIP_1) | instid1(VALU_DEP_2)
	v_mul_f64 v[10:11], v[8:9], s[10:11]
	v_mul_f64 v[8:9], v[8:9], 0.5
	v_fma_f64 v[14:15], v[12:13], 0.5, v[10:11]
	s_delay_alu instid0(VALU_DEP_2)
	v_fma_f64 v[39:40], v[12:13], s[4:5], v[8:9]
	v_fma_f64 v[12:13], v[31:32], s[10:11], v[16:17]
	v_fma_f64 v[31:32], v[33:34], s[10:11], v[18:19]
	v_fma_f64 v[16:17], v[35:36], s[4:5], v[37:38]
	v_mul_f64 v[18:19], v[21:22], s[10:11]
	v_mul_f64 v[21:22], v[21:22], -0.5
	v_add_f64 v[35:36], v[154:155], -v[162:163]
	v_add_f64 v[37:38], v[152:153], -v[160:161]
	v_add_f64 v[10:11], v[41:42], v[39:40]
	v_add_f64 v[8:9], v[12:13], v[14:15]
	v_add_f64 v[12:13], v[12:13], -v[14:15]
	v_add_f64 v[14:15], v[41:42], -v[39:40]
	v_fma_f64 v[33:34], v[16:17], -0.5, v[18:19]
	v_fma_f64 v[21:22], v[16:17], s[4:5], v[21:22]
	v_add_f64 v[39:40], v[158:159], -v[166:167]
	s_delay_alu instid0(VALU_DEP_3) | instskip(NEXT) | instid1(VALU_DEP_3)
	v_add_f64 v[16:17], v[29:30], v[33:34]
	v_add_f64 v[18:19], v[31:32], v[21:22]
	v_add_f64 v[29:30], v[29:30], -v[33:34]
	v_add_f64 v[31:32], v[31:32], -v[21:22]
	v_lshl_add_u32 v21, v61, 4, 0
	ds_store_b128 v21, v[0:3] offset:17280
	ds_store_b128 v21, v[8:11] offset:18240
	;; [unrolled: 1-line block ×6, first 2 shown]
	v_add_f64 v[0:1], v[152:153], v[160:161]
	v_add_f64 v[2:3], v[96:97], v[154:155]
	v_add_f64 v[31:32], v[156:157], -v[164:165]
	s_delay_alu instid0(VALU_DEP_3) | instskip(SKIP_1) | instid1(VALU_DEP_4)
	v_fma_f64 v[21:22], v[0:1], -0.5, v[94:95]
	v_add_f64 v[0:1], v[154:155], v[162:163]
	v_add_f64 v[6:7], v[2:3], v[162:163]
	s_delay_alu instid0(VALU_DEP_2) | instskip(SKIP_1) | instid1(VALU_DEP_2)
	v_fma_f64 v[29:30], v[0:1], -0.5, v[96:97]
	v_add_f64 v[0:1], v[94:95], v[152:153]
	v_fma_f64 v[49:50], v[37:38], s[4:5], v[29:30]
	s_delay_alu instid0(VALU_DEP_2) | instskip(SKIP_1) | instid1(VALU_DEP_1)
	v_add_f64 v[4:5], v[0:1], v[160:161]
	v_add_f64 v[0:1], v[148:149], v[156:157]
	;; [unrolled: 1-line block ×4, first 2 shown]
	s_delay_alu instid0(VALU_DEP_1) | instskip(NEXT) | instid1(VALU_DEP_3)
	v_add_f64 v[10:11], v[0:1], v[166:167]
	v_add_f64 v[0:1], v[4:5], v[8:9]
	v_add_f64 v[4:5], v[4:5], -v[8:9]
	v_add_f64 v[8:9], v[172:173], v[180:181]
	s_delay_alu instid0(VALU_DEP_4) | instskip(SKIP_2) | instid1(VALU_DEP_4)
	v_add_f64 v[2:3], v[6:7], v[10:11]
	v_add_f64 v[6:7], v[6:7], -v[10:11]
	v_add_f64 v[10:11], v[27:28], v[174:175]
	v_fma_f64 v[45:46], v[8:9], -0.5, v[25:26]
	v_add_f64 v[8:9], v[174:175], v[182:183]
	s_delay_alu instid0(VALU_DEP_3) | instskip(NEXT) | instid1(VALU_DEP_2)
	v_add_f64 v[14:15], v[10:11], v[182:183]
	v_fma_f64 v[47:48], v[8:9], -0.5, v[27:28]
	v_add_f64 v[8:9], v[25:26], v[172:173]
	s_delay_alu instid0(VALU_DEP_2) | instskip(NEXT) | instid1(VALU_DEP_2)
	v_fma_f64 v[66:67], v[55:56], s[4:5], v[47:48]
	v_add_f64 v[12:13], v[8:9], v[180:181]
	v_add_f64 v[8:9], v[168:169], v[176:177]
	s_delay_alu instid0(VALU_DEP_1) | instskip(SKIP_1) | instid1(VALU_DEP_1)
	v_add_f64 v[16:17], v[8:9], v[184:185]
	v_add_f64 v[8:9], v[170:171], v[178:179]
	;; [unrolled: 1-line block ×3, first 2 shown]
	s_delay_alu instid0(VALU_DEP_3) | instskip(SKIP_2) | instid1(VALU_DEP_4)
	v_add_f64 v[8:9], v[12:13], v[16:17]
	v_add_f64 v[12:13], v[12:13], -v[16:17]
	v_add_f64 v[16:17], v[156:157], v[164:165]
	v_add_f64 v[10:11], v[14:15], v[18:19]
	v_add_f64 v[14:15], v[14:15], -v[18:19]
	v_add_f64 v[18:19], v[158:159], v[166:167]
	s_delay_alu instid0(VALU_DEP_4) | instskip(NEXT) | instid1(VALU_DEP_2)
	v_fma_f64 v[41:42], v[16:17], -0.5, v[148:149]
	v_fma_f64 v[33:34], v[18:19], -0.5, v[150:151]
	s_delay_alu instid0(VALU_DEP_2) | instskip(NEXT) | instid1(VALU_DEP_2)
	v_fma_f64 v[25:26], v[39:40], s[10:11], v[41:42]
	v_fma_f64 v[16:17], v[31:32], s[4:5], v[33:34]
	;; [unrolled: 1-line block ×4, first 2 shown]
	s_delay_alu instid0(VALU_DEP_3) | instskip(SKIP_1) | instid1(VALU_DEP_2)
	v_mul_f64 v[18:19], v[16:17], s[10:11]
	v_mul_f64 v[16:17], v[16:17], 0.5
	v_fma_f64 v[27:28], v[25:26], 0.5, v[18:19]
	s_delay_alu instid0(VALU_DEP_2)
	v_fma_f64 v[43:44], v[25:26], s[4:5], v[16:17]
	v_fma_f64 v[25:26], v[35:36], s[10:11], v[21:22]
	v_fma_f64 v[21:22], v[35:36], s[4:5], v[21:22]
	v_fma_f64 v[35:36], v[37:38], s[10:11], v[29:30]
	v_mul_f64 v[29:30], v[31:32], s[10:11]
	v_mul_f64 v[31:32], v[31:32], -0.5
	v_add_f64 v[18:19], v[49:50], v[43:44]
	v_add_f64 v[16:17], v[25:26], v[27:28]
	v_add_f64 v[25:26], v[25:26], -v[27:28]
	v_add_f64 v[27:28], v[49:50], -v[43:44]
	v_fma_f64 v[37:38], v[33:34], -0.5, v[29:30]
	v_fma_f64 v[39:40], v[33:34], s[4:5], v[31:32]
	v_add_f64 v[49:50], v[176:177], -v[184:185]
	s_delay_alu instid0(VALU_DEP_3)
	v_add_f64 v[29:30], v[21:22], v[37:38]
	v_add_f64 v[33:34], v[21:22], -v[37:38]
	v_add_f64 v[37:38], v[178:179], v[186:187]
	v_add_f64 v[21:22], v[176:177], v[184:185]
	;; [unrolled: 1-line block ×3, first 2 shown]
	v_add_f64 v[35:36], v[35:36], -v[39:40]
	s_delay_alu instid0(VALU_DEP_4) | instskip(NEXT) | instid1(VALU_DEP_4)
	v_fma_f64 v[51:52], v[37:38], -0.5, v[170:171]
	v_fma_f64 v[21:22], v[21:22], -0.5, v[168:169]
	s_delay_alu instid0(VALU_DEP_2) | instskip(NEXT) | instid1(VALU_DEP_2)
	v_fma_f64 v[37:38], v[49:50], s[4:5], v[51:52]
	v_fma_f64 v[41:42], v[57:58], s[10:11], v[21:22]
	;; [unrolled: 1-line block ×5, first 2 shown]
	v_mul_f64 v[39:40], v[37:38], s[10:11]
	v_mul_f64 v[37:38], v[37:38], 0.5
	s_delay_alu instid0(VALU_DEP_2) | instskip(NEXT) | instid1(VALU_DEP_2)
	v_fma_f64 v[43:44], v[41:42], 0.5, v[39:40]
	v_fma_f64 v[59:60], v[41:42], s[4:5], v[37:38]
	v_fma_f64 v[41:42], v[53:54], s[10:11], v[45:46]
	;; [unrolled: 1-line block ×3, first 2 shown]
	v_mul_f64 v[45:46], v[49:50], s[10:11]
	v_mul_f64 v[47:48], v[49:50], -0.5
	v_add_f64 v[39:40], v[66:67], v[59:60]
	v_add_f64 v[37:38], v[41:42], v[43:44]
	v_add_f64 v[41:42], v[41:42], -v[43:44]
	v_fma_f64 v[49:50], v[21:22], -0.5, v[45:46]
	v_fma_f64 v[21:22], v[21:22], s[4:5], v[47:48]
	v_add_f64 v[43:44], v[66:67], -v[59:60]
	s_delay_alu instid0(VALU_DEP_3) | instskip(NEXT) | instid1(VALU_DEP_3)
	v_add_f64 v[45:46], v[51:52], v[49:50]
	v_add_f64 v[47:48], v[53:54], v[21:22]
	v_add_f64 v[49:50], v[51:52], -v[49:50]
	v_add_f64 v[51:52], v[53:54], -v[21:22]
	v_lshl_add_u32 v22, v192, 4, 0
	ds_store_b128 v22, v[0:3] offset:23040
	ds_store_b128 v22, v[16:19] offset:24000
	;; [unrolled: 1-line block ×3, first 2 shown]
	v_add_co_u32 v16, s0, s8, v20
	s_delay_alu instid0(VALU_DEP_1) | instskip(SKIP_1) | instid1(VALU_DEP_3)
	v_add_co_ci_u32_e64 v17, null, s9, 0, s0
	v_lshl_add_u32 v0, v193, 4, 0
	v_add_co_u32 v20, s0, 0x1000, v16
	s_delay_alu instid0(VALU_DEP_1)
	v_add_co_ci_u32_e64 v21, s0, 0, v17, s0
	ds_store_b128 v22, v[4:7] offset:25920
	ds_store_b128 v22, v[25:28] offset:26880
	;; [unrolled: 1-line block ×9, first 2 shown]
	s_waitcnt lgkmcnt(0)
	s_barrier
	buffer_gl0_inv
	global_load_b128 v[0:3], v[20:21], off offset:1504
	v_add_co_u32 v4, s0, 0x15e0, v16
	s_delay_alu instid0(VALU_DEP_1)
	v_add_co_ci_u32_e64 v5, s0, 0, v17, s0
	s_clause 0x2
	global_load_b128 v[12:15], v[4:5], off offset:16
	global_load_b128 v[8:11], v[4:5], off offset:32
	;; [unrolled: 1-line block ×3, first 2 shown]
	ds_load_b128 v[16:19], v210 offset:5760
	ds_load_b128 v[25:28], v210 offset:4800
	;; [unrolled: 1-line block ×4, first 2 shown]
	s_waitcnt vmcnt(3) lgkmcnt(3)
	v_mul_f64 v[22:23], v[18:19], v[2:3]
	v_mul_f64 v[2:3], v[16:17], v[2:3]
	s_waitcnt vmcnt(2) lgkmcnt(1)
	v_mul_f64 v[37:38], v[31:32], v[14:15]
	v_mul_f64 v[14:15], v[29:30], v[14:15]
	s_delay_alu instid0(VALU_DEP_4) | instskip(NEXT) | instid1(VALU_DEP_4)
	v_fma_f64 v[57:58], v[16:17], v[0:1], v[22:23]
	v_fma_f64 v[59:60], v[18:19], v[0:1], -v[2:3]
	ds_load_b128 v[0:3], v210 offset:17280
	v_fma_f64 v[122:123], v[29:30], v[12:13], v[37:38]
	v_fma_f64 v[124:125], v[31:32], v[12:13], -v[14:15]
	ds_load_b128 v[12:15], v210 offset:16320
	s_waitcnt vmcnt(1) lgkmcnt(1)
	v_mul_f64 v[16:17], v[2:3], v[10:11]
	v_mul_f64 v[10:11], v[0:1], v[10:11]
	s_delay_alu instid0(VALU_DEP_2) | instskip(NEXT) | instid1(VALU_DEP_2)
	v_fma_f64 v[126:127], v[0:1], v[8:9], v[16:17]
	v_fma_f64 v[128:129], v[2:3], v[8:9], -v[10:11]
	ds_load_b128 v[0:3], v210 offset:23040
	ds_load_b128 v[8:11], v210 offset:22080
	s_waitcnt vmcnt(0) lgkmcnt(1)
	v_mul_f64 v[16:17], v[2:3], v[6:7]
	s_delay_alu instid0(VALU_DEP_1) | instskip(SKIP_1) | instid1(VALU_DEP_1)
	v_fma_f64 v[130:131], v[0:1], v[4:5], v[16:17]
	v_mul_f64 v[0:1], v[0:1], v[6:7]
	v_fma_f64 v[132:133], v[2:3], v[4:5], -v[0:1]
	global_load_b128 v[0:3], v[20:21], off offset:1568
	v_mul_u32_u24_e32 v4, 5, v24
	s_delay_alu instid0(VALU_DEP_1) | instskip(SKIP_2) | instid1(VALU_DEP_1)
	v_lshlrev_b32_e32 v24, 4, v4
	ds_load_b128 v[4:7], v210 offset:28800
	v_add_co_u32 v61, s0, s8, v24
	v_add_co_ci_u32_e64 v98, null, s9, 0, s0
	s_delay_alu instid0(VALU_DEP_2) | instskip(NEXT) | instid1(VALU_DEP_1)
	v_add_co_u32 v41, s0, 0x15e0, v61
	v_add_co_ci_u32_e64 v42, s0, 0, v98, s0
	global_load_b128 v[16:19], v[41:42], off offset:16
	ds_load_b128 v[20:23], v210 offset:27840
	s_waitcnt vmcnt(1) lgkmcnt(1)
	v_mul_f64 v[29:30], v[6:7], v[2:3]
	v_mul_f64 v[2:3], v[4:5], v[2:3]
	s_delay_alu instid0(VALU_DEP_2) | instskip(SKIP_1) | instid1(VALU_DEP_1)
	v_fma_f64 v[134:135], v[4:5], v[0:1], v[29:30]
	v_add_co_u32 v4, s0, 0x1000, v61
	v_add_co_ci_u32_e64 v5, s0, 0, v98, s0
	s_delay_alu instid0(VALU_DEP_4)
	v_fma_f64 v[136:137], v[6:7], v[0:1], -v[2:3]
	s_clause 0x1
	global_load_b128 v[0:3], v[4:5], off offset:1504
	global_load_b128 v[4:7], v[4:5], off offset:1568
	ds_load_b128 v[29:32], v210 offset:6720
	ds_load_b128 v[37:40], v210 offset:7680
	v_add_co_u32 v78, s0, 0x2000, v61
	s_delay_alu instid0(VALU_DEP_1) | instskip(SKIP_1) | instid1(VALU_DEP_1)
	v_add_co_ci_u32_e64 v79, s0, 0, v98, s0
	v_add_co_u32 v80, s0, 0x28a0, v61
	v_add_co_ci_u32_e64 v81, s0, 0, v98, s0
	s_waitcnt vmcnt(1) lgkmcnt(1)
	v_mul_f64 v[43:44], v[31:32], v[2:3]
	v_mul_f64 v[2:3], v[29:30], v[2:3]
	s_delay_alu instid0(VALU_DEP_2) | instskip(NEXT) | instid1(VALU_DEP_2)
	v_fma_f64 v[49:50], v[29:30], v[0:1], v[43:44]
	v_fma_f64 v[51:52], v[31:32], v[0:1], -v[2:3]
	ds_load_b128 v[0:3], v210 offset:12480
	ds_load_b128 v[29:32], v210 offset:13440
	s_waitcnt lgkmcnt(1)
	v_mul_f64 v[43:44], v[2:3], v[18:19]
	s_delay_alu instid0(VALU_DEP_1) | instskip(SKIP_1) | instid1(VALU_DEP_1)
	v_fma_f64 v[53:54], v[0:1], v[16:17], v[43:44]
	v_mul_f64 v[0:1], v[0:1], v[18:19]
	v_fma_f64 v[55:56], v[2:3], v[16:17], -v[0:1]
	s_clause 0x1
	global_load_b128 v[0:3], v[41:42], off offset:32
	global_load_b128 v[16:19], v[41:42], off offset:48
	ds_load_b128 v[41:44], v210 offset:18240
	ds_load_b128 v[45:48], v210 offset:19200
	s_waitcnt vmcnt(1) lgkmcnt(1)
	v_mul_f64 v[66:67], v[43:44], v[2:3]
	v_mul_f64 v[2:3], v[41:42], v[2:3]
	s_delay_alu instid0(VALU_DEP_2) | instskip(NEXT) | instid1(VALU_DEP_2)
	v_fma_f64 v[66:67], v[41:42], v[0:1], v[66:67]
	v_fma_f64 v[68:69], v[43:44], v[0:1], -v[2:3]
	ds_load_b128 v[0:3], v210 offset:24000
	ds_load_b128 v[41:44], v210 offset:24960
	s_waitcnt vmcnt(0) lgkmcnt(1)
	v_mul_f64 v[70:71], v[2:3], v[18:19]
	s_delay_alu instid0(VALU_DEP_1) | instskip(SKIP_1) | instid1(VALU_DEP_1)
	v_fma_f64 v[70:71], v[0:1], v[16:17], v[70:71]
	v_mul_f64 v[0:1], v[0:1], v[18:19]
	v_fma_f64 v[72:73], v[2:3], v[16:17], -v[0:1]
	ds_load_b128 v[0:3], v210 offset:29760
	ds_load_b128 v[16:19], v210 offset:30720
	s_waitcnt lgkmcnt(1)
	v_mul_f64 v[74:75], v[2:3], v[6:7]
	s_delay_alu instid0(VALU_DEP_1) | instskip(SKIP_1) | instid1(VALU_DEP_1)
	v_fma_f64 v[74:75], v[0:1], v[4:5], v[74:75]
	v_mul_f64 v[0:1], v[0:1], v[6:7]
	v_fma_f64 v[76:77], v[2:3], v[4:5], -v[0:1]
	s_clause 0x1
	global_load_b128 v[0:3], v[78:79], off offset:2208
	global_load_b128 v[4:7], v[80:81], off offset:48
	s_waitcnt vmcnt(1)
	v_mul_f64 v[82:83], v[39:40], v[2:3]
	v_mul_f64 v[2:3], v[37:38], v[2:3]
	s_delay_alu instid0(VALU_DEP_2) | instskip(NEXT) | instid1(VALU_DEP_2)
	v_fma_f64 v[82:83], v[37:38], v[0:1], v[82:83]
	v_fma_f64 v[84:85], v[39:40], v[0:1], -v[2:3]
	s_clause 0x1
	global_load_b128 v[0:3], v[80:81], off offset:16
	global_load_b128 v[37:40], v[80:81], off offset:32
	s_waitcnt vmcnt(1)
	v_mul_f64 v[80:81], v[31:32], v[2:3]
	v_mul_f64 v[2:3], v[29:30], v[2:3]
	s_delay_alu instid0(VALU_DEP_2) | instskip(NEXT) | instid1(VALU_DEP_2)
	v_fma_f64 v[80:81], v[29:30], v[0:1], v[80:81]
	v_fma_f64 v[86:87], v[31:32], v[0:1], -v[2:3]
	s_waitcnt vmcnt(0)
	v_mul_f64 v[0:1], v[47:48], v[39:40]
	s_delay_alu instid0(VALU_DEP_1) | instskip(SKIP_1) | instid1(VALU_DEP_1)
	v_fma_f64 v[88:89], v[45:46], v[37:38], v[0:1]
	v_mul_f64 v[0:1], v[45:46], v[39:40]
	v_fma_f64 v[90:91], v[47:48], v[37:38], -v[0:1]
	v_mul_f64 v[0:1], v[43:44], v[6:7]
	s_delay_alu instid0(VALU_DEP_1) | instskip(SKIP_2) | instid1(VALU_DEP_1)
	v_fma_f64 v[92:93], v[41:42], v[4:5], v[0:1]
	v_mul_f64 v[0:1], v[41:42], v[6:7]
	v_add_co_u32 v41, s0, 0x3b60, v61
	v_add_co_ci_u32_e64 v42, s0, 0, v98, s0
	s_delay_alu instid0(VALU_DEP_3)
	v_fma_f64 v[94:95], v[43:44], v[4:5], -v[0:1]
	s_clause 0x1
	global_load_b128 v[0:3], v[78:79], off offset:2272
	global_load_b128 v[4:7], v[41:42], off offset:16
	s_waitcnt vmcnt(1) lgkmcnt(0)
	v_mul_f64 v[29:30], v[18:19], v[2:3]
	v_mul_f64 v[2:3], v[16:17], v[2:3]
	s_delay_alu instid0(VALU_DEP_2) | instskip(SKIP_1) | instid1(VALU_DEP_1)
	v_fma_f64 v[78:79], v[16:17], v[0:1], v[29:30]
	v_add_co_u32 v16, s0, 0x3000, v61
	v_add_co_ci_u32_e64 v17, s0, 0, v98, s0
	s_delay_alu instid0(VALU_DEP_4)
	v_fma_f64 v[96:97], v[18:19], v[0:1], -v[2:3]
	s_clause 0x1
	global_load_b128 v[0:3], v[16:17], off offset:2912
	global_load_b128 v[16:19], v[16:17], off offset:2976
	ds_load_b128 v[29:32], v210 offset:8640
	ds_load_b128 v[37:40], v210 offset:9600
	s_waitcnt vmcnt(1) lgkmcnt(1)
	v_mul_f64 v[43:44], v[31:32], v[2:3]
	v_mul_f64 v[2:3], v[29:30], v[2:3]
	s_delay_alu instid0(VALU_DEP_2) | instskip(NEXT) | instid1(VALU_DEP_2)
	v_fma_f64 v[98:99], v[29:30], v[0:1], v[43:44]
	v_fma_f64 v[100:101], v[31:32], v[0:1], -v[2:3]
	ds_load_b128 v[0:3], v210 offset:14400
	ds_load_b128 v[29:32], v210 offset:15360
	s_waitcnt lgkmcnt(1)
	v_mul_f64 v[43:44], v[2:3], v[6:7]
	s_delay_alu instid0(VALU_DEP_1) | instskip(SKIP_1) | instid1(VALU_DEP_1)
	v_fma_f64 v[102:103], v[0:1], v[4:5], v[43:44]
	v_mul_f64 v[0:1], v[0:1], v[6:7]
	v_fma_f64 v[104:105], v[2:3], v[4:5], -v[0:1]
	s_clause 0x1
	global_load_b128 v[0:3], v[41:42], off offset:32
	global_load_b128 v[4:7], v[41:42], off offset:48
	ds_load_b128 v[41:44], v210 offset:20160
	ds_load_b128 v[45:48], v210 offset:21120
	s_waitcnt vmcnt(1) lgkmcnt(1)
	v_mul_f64 v[106:107], v[43:44], v[2:3]
	v_mul_f64 v[2:3], v[41:42], v[2:3]
	s_delay_alu instid0(VALU_DEP_2) | instskip(NEXT) | instid1(VALU_DEP_2)
	v_fma_f64 v[106:107], v[41:42], v[0:1], v[106:107]
	v_fma_f64 v[108:109], v[43:44], v[0:1], -v[2:3]
	ds_load_b128 v[0:3], v210 offset:25920
	ds_load_b128 v[41:44], v210 offset:26880
	s_waitcnt vmcnt(0) lgkmcnt(1)
	v_mul_f64 v[110:111], v[2:3], v[6:7]
	s_delay_alu instid0(VALU_DEP_1) | instskip(SKIP_1) | instid1(VALU_DEP_1)
	v_fma_f64 v[110:111], v[0:1], v[4:5], v[110:111]
	v_mul_f64 v[0:1], v[0:1], v[6:7]
	v_fma_f64 v[112:113], v[2:3], v[4:5], -v[0:1]
	ds_load_b128 v[0:3], v210 offset:31680
	ds_load_b128 v[4:7], v210 offset:32640
	s_waitcnt lgkmcnt(1)
	v_mul_f64 v[114:115], v[2:3], v[18:19]
	s_delay_alu instid0(VALU_DEP_1) | instskip(SKIP_1) | instid1(VALU_DEP_1)
	v_fma_f64 v[114:115], v[0:1], v[16:17], v[114:115]
	v_mul_f64 v[0:1], v[0:1], v[18:19]
	v_fma_f64 v[116:117], v[2:3], v[16:17], -v[0:1]
	v_add_nc_u32_e32 v0, 0x3840, v24
	s_delay_alu instid0(VALU_DEP_1) | instskip(NEXT) | instid1(VALU_DEP_1)
	v_add_co_u32 v0, s0, s8, v0
	v_add_co_ci_u32_e64 v1, null, s9, 0, s0
	s_delay_alu instid0(VALU_DEP_2) | instskip(NEXT) | instid1(VALU_DEP_1)
	v_add_co_u32 v118, s0, 0x1000, v0
	v_add_co_ci_u32_e64 v119, s0, 0, v1, s0
	v_add_co_u32 v120, s0, 0x15e0, v0
	s_delay_alu instid0(VALU_DEP_1)
	v_add_co_ci_u32_e64 v121, s0, 0, v1, s0
	s_clause 0x1
	global_load_b128 v[0:3], v[118:119], off offset:1504
	global_load_b128 v[16:19], v[120:121], off offset:48
	s_waitcnt vmcnt(1)
	v_mul_f64 v[138:139], v[39:40], v[2:3]
	v_mul_f64 v[2:3], v[37:38], v[2:3]
	s_delay_alu instid0(VALU_DEP_2) | instskip(NEXT) | instid1(VALU_DEP_2)
	v_fma_f64 v[138:139], v[37:38], v[0:1], v[138:139]
	v_fma_f64 v[140:141], v[39:40], v[0:1], -v[2:3]
	s_clause 0x1
	global_load_b128 v[0:3], v[120:121], off offset:16
	global_load_b128 v[37:40], v[120:121], off offset:32
	s_waitcnt vmcnt(1)
	v_mul_f64 v[120:121], v[31:32], v[2:3]
	v_mul_f64 v[2:3], v[29:30], v[2:3]
	s_delay_alu instid0(VALU_DEP_2) | instskip(NEXT) | instid1(VALU_DEP_2)
	v_fma_f64 v[120:121], v[29:30], v[0:1], v[120:121]
	v_fma_f64 v[142:143], v[31:32], v[0:1], -v[2:3]
	s_waitcnt vmcnt(0)
	v_mul_f64 v[0:1], v[47:48], v[39:40]
	s_delay_alu instid0(VALU_DEP_1) | instskip(SKIP_1) | instid1(VALU_DEP_1)
	v_fma_f64 v[144:145], v[45:46], v[37:38], v[0:1]
	v_mul_f64 v[0:1], v[45:46], v[39:40]
	v_fma_f64 v[146:147], v[47:48], v[37:38], -v[0:1]
	v_mul_f64 v[0:1], v[43:44], v[18:19]
	s_delay_alu instid0(VALU_DEP_1) | instskip(SKIP_1) | instid1(VALU_DEP_1)
	v_fma_f64 v[148:149], v[41:42], v[16:17], v[0:1]
	v_mul_f64 v[0:1], v[41:42], v[18:19]
	v_fma_f64 v[150:151], v[43:44], v[16:17], -v[0:1]
	v_add_nc_u32_e32 v0, 0x4b00, v24
	s_delay_alu instid0(VALU_DEP_1) | instskip(NEXT) | instid1(VALU_DEP_1)
	v_add_co_u32 v24, s0, s8, v0
	v_add_co_ci_u32_e64 v37, null, s9, 0, s0
	s_delay_alu instid0(VALU_DEP_2) | instskip(NEXT) | instid1(VALU_DEP_1)
	v_add_co_u32 v29, s0, 0x15e0, v24
	v_add_co_ci_u32_e64 v30, s0, 0, v37, s0
	s_clause 0x1
	global_load_b128 v[0:3], v[118:119], off offset:1568
	global_load_b128 v[16:19], v[29:30], off offset:16
	s_waitcnt vmcnt(1) lgkmcnt(0)
	v_mul_f64 v[31:32], v[6:7], v[2:3]
	v_mul_f64 v[2:3], v[4:5], v[2:3]
	s_delay_alu instid0(VALU_DEP_2) | instskip(SKIP_1) | instid1(VALU_DEP_1)
	v_fma_f64 v[118:119], v[4:5], v[0:1], v[31:32]
	v_add_co_u32 v4, s0, 0x1000, v24
	v_add_co_ci_u32_e64 v5, s0, 0, v37, s0
	s_delay_alu instid0(VALU_DEP_4)
	v_fma_f64 v[152:153], v[6:7], v[0:1], -v[2:3]
	s_clause 0x1
	global_load_b128 v[0:3], v[4:5], off offset:1504
	global_load_b128 v[4:7], v[4:5], off offset:1568
	v_add_f64 v[37:38], v[102:103], v[110:111]
	s_waitcnt vmcnt(1)
	v_mul_f64 v[31:32], v[35:36], v[2:3]
	v_mul_f64 v[2:3], v[33:34], v[2:3]
	s_delay_alu instid0(VALU_DEP_2) | instskip(NEXT) | instid1(VALU_DEP_2)
	v_fma_f64 v[154:155], v[33:34], v[0:1], v[31:32]
	v_fma_f64 v[156:157], v[35:36], v[0:1], -v[2:3]
	v_mul_f64 v[0:1], v[14:15], v[18:19]
	s_delay_alu instid0(VALU_DEP_1) | instskip(SKIP_1) | instid1(VALU_DEP_1)
	v_fma_f64 v[158:159], v[12:13], v[16:17], v[0:1]
	v_mul_f64 v[0:1], v[12:13], v[18:19]
	v_fma_f64 v[160:161], v[14:15], v[16:17], -v[0:1]
	s_clause 0x1
	global_load_b128 v[0:3], v[29:30], off offset:32
	global_load_b128 v[12:15], v[29:30], off offset:48
	s_waitcnt vmcnt(1)
	v_mul_f64 v[16:17], v[10:11], v[2:3]
	v_mul_f64 v[2:3], v[8:9], v[2:3]
	s_delay_alu instid0(VALU_DEP_2) | instskip(NEXT) | instid1(VALU_DEP_2)
	v_fma_f64 v[162:163], v[8:9], v[0:1], v[16:17]
	v_fma_f64 v[164:165], v[10:11], v[0:1], -v[2:3]
	s_waitcnt vmcnt(0)
	v_mul_f64 v[0:1], v[22:23], v[14:15]
	v_add_f64 v[16:17], v[53:54], v[70:71]
	s_delay_alu instid0(VALU_DEP_2) | instskip(SKIP_1) | instid1(VALU_DEP_1)
	v_fma_f64 v[166:167], v[20:21], v[12:13], v[0:1]
	v_mul_f64 v[0:1], v[20:21], v[14:15]
	v_fma_f64 v[168:169], v[22:23], v[12:13], -v[0:1]
	ds_load_b128 v[0:3], v210 offset:33600
	ds_load_b128 v[8:11], v210
	s_waitcnt lgkmcnt(1)
	v_mul_f64 v[12:13], v[2:3], v[6:7]
	s_delay_alu instid0(VALU_DEP_1) | instskip(SKIP_1) | instid1(VALU_DEP_1)
	v_fma_f64 v[170:171], v[0:1], v[4:5], v[12:13]
	v_mul_f64 v[0:1], v[0:1], v[6:7]
	v_fma_f64 v[172:173], v[2:3], v[4:5], -v[0:1]
	v_add_f64 v[0:1], v[122:123], v[130:131]
	s_waitcnt lgkmcnt(0)
	v_add_f64 v[2:3], v[10:11], v[124:125]
	s_delay_alu instid0(VALU_DEP_2) | instskip(SKIP_1) | instid1(VALU_DEP_3)
	v_fma_f64 v[174:175], v[0:1], -0.5, v[8:9]
	v_add_f64 v[0:1], v[124:125], v[132:133]
	v_add_f64 v[6:7], v[2:3], v[132:133]
	v_add_f64 v[132:133], v[124:125], -v[132:133]
	s_delay_alu instid0(VALU_DEP_3) | instskip(SKIP_1) | instid1(VALU_DEP_1)
	v_fma_f64 v[176:177], v[0:1], -0.5, v[10:11]
	v_add_f64 v[0:1], v[8:9], v[122:123]
	v_add_f64 v[4:5], v[0:1], v[130:131]
	;; [unrolled: 1-line block ×3, first 2 shown]
	v_add_f64 v[130:131], v[122:123], -v[130:131]
	s_delay_alu instid0(VALU_DEP_2) | instskip(SKIP_1) | instid1(VALU_DEP_1)
	v_add_f64 v[8:9], v[0:1], v[134:135]
	v_add_f64 v[0:1], v[59:60], v[128:129]
	;; [unrolled: 1-line block ×3, first 2 shown]
	s_delay_alu instid0(VALU_DEP_3) | instskip(SKIP_1) | instid1(VALU_DEP_3)
	v_add_f64 v[0:1], v[4:5], v[8:9]
	v_add_f64 v[4:5], v[4:5], -v[8:9]
	v_add_f64 v[2:3], v[6:7], v[10:11]
	v_add_f64 v[6:7], v[6:7], -v[10:11]
	ds_load_b128 v[8:11], v210 offset:960
	ds_load_b128 v[12:15], v210 offset:1920
	s_waitcnt lgkmcnt(1)
	v_fma_f64 v[178:179], v[16:17], -0.5, v[8:9]
	v_add_f64 v[16:17], v[55:56], v[72:73]
	v_add_f64 v[8:9], v[8:9], v[53:54]
	s_delay_alu instid0(VALU_DEP_2) | instskip(NEXT) | instid1(VALU_DEP_2)
	v_fma_f64 v[180:181], v[16:17], -0.5, v[10:11]
	v_add_f64 v[16:17], v[8:9], v[70:71]
	v_add_f64 v[8:9], v[49:50], v[66:67]
	;; [unrolled: 1-line block ×3, first 2 shown]
	v_add_f64 v[70:71], v[53:54], -v[70:71]
	s_delay_alu instid0(VALU_DEP_3) | instskip(SKIP_1) | instid1(VALU_DEP_4)
	v_add_f64 v[20:21], v[8:9], v[74:75]
	v_add_f64 v[8:9], v[51:52], v[68:69]
	;; [unrolled: 1-line block ×3, first 2 shown]
	v_add_f64 v[72:73], v[55:56], -v[72:73]
	s_delay_alu instid0(VALU_DEP_3) | instskip(SKIP_3) | instid1(VALU_DEP_4)
	v_add_f64 v[22:23], v[8:9], v[76:77]
	v_add_f64 v[8:9], v[16:17], v[20:21]
	v_add_f64 v[16:17], v[16:17], -v[20:21]
	v_add_f64 v[20:21], v[80:81], v[92:93]
	v_add_f64 v[10:11], v[18:19], v[22:23]
	v_add_f64 v[18:19], v[18:19], -v[22:23]
	s_waitcnt lgkmcnt(0)
	s_delay_alu instid0(VALU_DEP_3) | instskip(SKIP_2) | instid1(VALU_DEP_2)
	v_fma_f64 v[182:183], v[20:21], -0.5, v[12:13]
	v_add_f64 v[20:21], v[86:87], v[94:95]
	v_add_f64 v[12:13], v[12:13], v[80:81]
	v_fma_f64 v[184:185], v[20:21], -0.5, v[14:15]
	s_delay_alu instid0(VALU_DEP_2) | instskip(SKIP_4) | instid1(VALU_DEP_4)
	v_add_f64 v[20:21], v[12:13], v[92:93]
	v_add_f64 v[12:13], v[82:83], v[88:89]
	;; [unrolled: 1-line block ×3, first 2 shown]
	v_add_f64 v[92:93], v[80:81], -v[92:93]
	v_add_f64 v[86:87], v[86:87], -v[94:95]
	v_add_f64 v[29:30], v[12:13], v[78:79]
	v_add_f64 v[12:13], v[84:85], v[90:91]
	;; [unrolled: 1-line block ×3, first 2 shown]
	s_delay_alu instid0(VALU_DEP_2) | instskip(NEXT) | instid1(VALU_DEP_4)
	v_add_f64 v[31:32], v[12:13], v[96:97]
	v_add_f64 v[12:13], v[20:21], v[29:30]
	v_add_f64 v[20:21], v[20:21], -v[29:30]
	s_delay_alu instid0(VALU_DEP_3)
	v_add_f64 v[14:15], v[22:23], v[31:32]
	v_add_f64 v[22:23], v[22:23], -v[31:32]
	ds_load_b128 v[29:32], v210 offset:2880
	ds_load_b128 v[33:36], v210 offset:3840
	s_waitcnt lgkmcnt(0)
	s_barrier
	buffer_gl0_inv
	v_fma_f64 v[186:187], v[37:38], -0.5, v[29:30]
	v_add_f64 v[37:38], v[104:105], v[112:113]
	v_add_f64 v[29:30], v[29:30], v[102:103]
	v_add_f64 v[102:103], v[102:103], -v[110:111]
	s_delay_alu instid0(VALU_DEP_3) | instskip(NEXT) | instid1(VALU_DEP_3)
	v_fma_f64 v[188:189], v[37:38], -0.5, v[31:32]
	v_add_f64 v[37:38], v[29:30], v[110:111]
	v_add_f64 v[29:30], v[98:99], v[106:107]
	;; [unrolled: 1-line block ×3, first 2 shown]
	v_add_f64 v[104:105], v[104:105], -v[112:113]
	s_delay_alu instid0(VALU_DEP_3) | instskip(SKIP_1) | instid1(VALU_DEP_4)
	v_add_f64 v[41:42], v[29:30], v[114:115]
	v_add_f64 v[29:30], v[100:101], v[108:109]
	v_add_f64 v[39:40], v[31:32], v[112:113]
	v_fma_f64 v[112:113], v[102:103], s[4:5], v[188:189]
	s_delay_alu instid0(VALU_DEP_3) | instskip(SKIP_3) | instid1(VALU_DEP_4)
	v_add_f64 v[43:44], v[29:30], v[116:117]
	v_add_f64 v[29:30], v[37:38], v[41:42]
	v_add_f64 v[37:38], v[37:38], -v[41:42]
	v_add_f64 v[41:42], v[120:121], v[148:149]
	v_add_f64 v[31:32], v[39:40], v[43:44]
	v_add_f64 v[39:40], v[39:40], -v[43:44]
	s_delay_alu instid0(VALU_DEP_3) | instskip(SKIP_3) | instid1(VALU_DEP_3)
	v_fma_f64 v[190:191], v[41:42], -0.5, v[33:34]
	v_add_f64 v[41:42], v[142:143], v[150:151]
	v_add_f64 v[33:34], v[33:34], v[120:121]
	v_add_f64 v[120:121], v[120:121], -v[148:149]
	v_fma_f64 v[192:193], v[41:42], -0.5, v[35:36]
	s_delay_alu instid0(VALU_DEP_3) | instskip(SKIP_3) | instid1(VALU_DEP_3)
	v_add_f64 v[41:42], v[33:34], v[148:149]
	v_add_f64 v[33:34], v[138:139], v[144:145]
	v_add_f64 v[35:36], v[35:36], v[142:143]
	v_add_f64 v[148:149], v[160:161], -v[168:169]
	v_add_f64 v[45:46], v[33:34], v[118:119]
	v_add_f64 v[33:34], v[140:141], v[146:147]
	s_delay_alu instid0(VALU_DEP_4) | instskip(NEXT) | instid1(VALU_DEP_2)
	v_add_f64 v[43:44], v[35:36], v[150:151]
	v_add_f64 v[47:48], v[33:34], v[152:153]
	s_delay_alu instid0(VALU_DEP_4) | instskip(SKIP_2) | instid1(VALU_DEP_4)
	v_add_f64 v[33:34], v[41:42], v[45:46]
	v_add_f64 v[41:42], v[41:42], -v[45:46]
	v_add_f64 v[45:46], v[158:159], v[166:167]
	v_add_f64 v[35:36], v[43:44], v[47:48]
	v_add_f64 v[43:44], v[43:44], -v[47:48]
	s_delay_alu instid0(VALU_DEP_3) | instskip(SKIP_2) | instid1(VALU_DEP_2)
	v_fma_f64 v[194:195], v[45:46], -0.5, v[25:26]
	v_add_f64 v[45:46], v[160:161], v[168:169]
	v_add_f64 v[24:25], v[25:26], v[158:159]
	v_fma_f64 v[196:197], v[45:46], -0.5, v[27:28]
	s_delay_alu instid0(VALU_DEP_2) | instskip(SKIP_2) | instid1(VALU_DEP_2)
	v_add_f64 v[45:46], v[24:25], v[166:167]
	v_add_f64 v[24:25], v[154:155], v[162:163]
	;; [unrolled: 1-line block ×5, first 2 shown]
	s_delay_alu instid0(VALU_DEP_3) | instskip(NEXT) | instid1(VALU_DEP_2)
	v_add_f64 v[47:48], v[26:27], v[168:169]
	v_add_f64 v[200:201], v[24:25], v[172:173]
	s_delay_alu instid0(VALU_DEP_4)
	v_add_f64 v[24:25], v[45:46], v[198:199]
	v_add_f64 v[45:46], v[45:46], -v[198:199]
	v_add_f64 v[198:199], v[66:67], v[74:75]
	v_add_f64 v[66:67], v[66:67], -v[74:75]
	;; [unrolled: 2-line block ×4, first 2 shown]
	v_fma_f64 v[200:201], v[70:71], s[4:5], v[180:181]
	v_fma_f64 v[76:77], v[198:199], -0.5, v[49:50]
	v_fma_f64 v[74:75], v[74:75], -0.5, v[51:52]
	s_delay_alu instid0(VALU_DEP_2) | instskip(SKIP_1) | instid1(VALU_DEP_3)
	v_fma_f64 v[53:54], v[68:69], s[10:11], v[76:77]
	v_fma_f64 v[68:69], v[68:69], s[4:5], v[76:77]
	;; [unrolled: 1-line block ×5, first 2 shown]
	s_delay_alu instid0(VALU_DEP_3) | instskip(SKIP_1) | instid1(VALU_DEP_4)
	v_mul_f64 v[51:52], v[49:50], s[10:11]
	v_mul_f64 v[49:50], v[49:50], 0.5
	v_mul_f64 v[70:71], v[66:67], s[10:11]
	v_mul_f64 v[66:67], v[66:67], -0.5
	s_delay_alu instid0(VALU_DEP_4) | instskip(NEXT) | instid1(VALU_DEP_4)
	v_fma_f64 v[55:56], v[53:54], 0.5, v[51:52]
	v_fma_f64 v[198:199], v[53:54], s[4:5], v[49:50]
	v_fma_f64 v[53:54], v[72:73], s[10:11], v[178:179]
	;; [unrolled: 1-line block ×3, first 2 shown]
	v_fma_f64 v[70:71], v[68:69], -0.5, v[70:71]
	v_fma_f64 v[76:77], v[68:69], s[4:5], v[66:67]
	v_add_f64 v[51:52], v[200:201], v[198:199]
	v_add_f64 v[49:50], v[53:54], v[55:56]
	v_add_f64 v[53:54], v[53:54], -v[55:56]
	v_add_f64 v[66:67], v[72:73], v[70:71]
	v_add_f64 v[68:69], v[74:75], v[76:77]
	v_add_f64 v[70:71], v[72:73], -v[70:71]
	v_add_f64 v[72:73], v[74:75], -v[76:77]
	v_add_f64 v[76:77], v[90:91], v[96:97]
	v_add_f64 v[74:75], v[88:89], v[78:79]
	v_add_f64 v[88:89], v[88:89], -v[78:79]
	v_add_f64 v[90:91], v[90:91], -v[96:97]
	v_fma_f64 v[96:97], v[92:93], s[4:5], v[184:185]
	v_add_f64 v[55:56], v[200:201], -v[198:199]
	v_fma_f64 v[84:85], v[76:77], -0.5, v[84:85]
	v_fma_f64 v[82:83], v[74:75], -0.5, v[82:83]
	s_delay_alu instid0(VALU_DEP_2) | instskip(SKIP_1) | instid1(VALU_DEP_3)
	v_fma_f64 v[74:75], v[88:89], s[4:5], v[84:85]
	v_fma_f64 v[84:85], v[88:89], s[10:11], v[84:85]
	;; [unrolled: 1-line block ×5, first 2 shown]
	v_mul_f64 v[76:77], v[74:75], s[10:11]
	v_mul_f64 v[90:91], v[84:85], s[10:11]
	v_mul_f64 v[84:85], v[84:85], -0.5
	v_mul_f64 v[74:75], v[74:75], 0.5
	s_delay_alu instid0(VALU_DEP_4) | instskip(NEXT) | instid1(VALU_DEP_4)
	v_fma_f64 v[80:81], v[78:79], 0.5, v[76:77]
	v_fma_f64 v[90:91], v[82:83], -0.5, v[90:91]
	s_delay_alu instid0(VALU_DEP_4) | instskip(NEXT) | instid1(VALU_DEP_4)
	v_fma_f64 v[92:93], v[82:83], s[4:5], v[84:85]
	v_fma_f64 v[94:95], v[78:79], s[4:5], v[74:75]
	;; [unrolled: 1-line block ×4, first 2 shown]
	s_delay_alu instid0(VALU_DEP_4) | instskip(SKIP_2) | instid1(VALU_DEP_4)
	v_add_f64 v[84:85], v[88:89], v[92:93]
	v_add_f64 v[88:89], v[88:89], -v[92:93]
	v_add_f64 v[92:93], v[108:109], v[116:117]
	v_add_f64 v[82:83], v[86:87], v[90:91]
	v_add_f64 v[86:87], v[86:87], -v[90:91]
	v_add_f64 v[90:91], v[106:107], v[114:115]
	v_add_f64 v[106:107], v[106:107], -v[114:115]
	v_add_f64 v[108:109], v[108:109], -v[116:117]
	v_add_f64 v[74:75], v[78:79], v[80:81]
	v_add_f64 v[76:77], v[96:97], v[94:95]
	v_add_f64 v[78:79], v[78:79], -v[80:81]
	v_add_f64 v[80:81], v[96:97], -v[94:95]
	;; [unrolled: 1-line block ×3, first 2 shown]
	v_fma_f64 v[100:101], v[92:93], -0.5, v[100:101]
	v_fma_f64 v[98:99], v[90:91], -0.5, v[98:99]
	s_delay_alu instid0(VALU_DEP_2) | instskip(SKIP_2) | instid1(VALU_DEP_4)
	v_fma_f64 v[90:91], v[106:107], s[4:5], v[100:101]
	v_fma_f64 v[100:101], v[106:107], s[10:11], v[100:101]
	;; [unrolled: 1-line block ×5, first 2 shown]
	v_mul_f64 v[92:93], v[90:91], s[10:11]
	v_mul_f64 v[90:91], v[90:91], 0.5
	v_mul_f64 v[102:103], v[100:101], s[10:11]
	v_mul_f64 v[100:101], v[100:101], -0.5
	s_delay_alu instid0(VALU_DEP_4) | instskip(NEXT) | instid1(VALU_DEP_4)
	v_fma_f64 v[96:97], v[94:95], 0.5, v[92:93]
	v_fma_f64 v[110:111], v[94:95], s[4:5], v[90:91]
	v_fma_f64 v[94:95], v[104:105], s[10:11], v[186:187]
	;; [unrolled: 1-line block ×3, first 2 shown]
	v_fma_f64 v[102:103], v[98:99], -0.5, v[102:103]
	v_fma_f64 v[108:109], v[98:99], s[4:5], v[100:101]
	v_add_f64 v[92:93], v[112:113], v[110:111]
	v_add_f64 v[90:91], v[94:95], v[96:97]
	v_add_f64 v[94:95], v[94:95], -v[96:97]
	v_add_f64 v[98:99], v[104:105], v[102:103]
	v_add_f64 v[100:101], v[106:107], v[108:109]
	v_add_f64 v[102:103], v[104:105], -v[102:103]
	v_add_f64 v[104:105], v[106:107], -v[108:109]
	v_add_f64 v[108:109], v[146:147], v[152:153]
	v_add_f64 v[106:107], v[144:145], v[118:119]
	v_add_f64 v[96:97], v[112:113], -v[110:111]
	v_add_f64 v[118:119], v[142:143], -v[150:151]
	v_fma_f64 v[144:145], v[120:121], s[4:5], v[192:193]
	v_fma_f64 v[120:121], v[120:121], s[10:11], v[192:193]
	v_add_f64 v[150:151], v[158:159], -v[166:167]
	v_fma_f64 v[116:117], v[108:109], -0.5, v[140:141]
	v_add_f64 v[140:141], v[146:147], -v[152:153]
	v_fma_f64 v[138:139], v[106:107], -0.5, v[138:139]
	v_add_f64 v[152:153], v[164:165], -v[172:173]
	s_delay_alu instid0(VALU_DEP_4) | instskip(SKIP_1) | instid1(VALU_DEP_4)
	v_fma_f64 v[106:107], v[114:115], s[4:5], v[116:117]
	v_fma_f64 v[114:115], v[114:115], s[10:11], v[116:117]
	;; [unrolled: 1-line block ×4, first 2 shown]
	s_delay_alu instid0(VALU_DEP_4) | instskip(SKIP_3) | instid1(VALU_DEP_4)
	v_mul_f64 v[108:109], v[106:107], s[10:11]
	v_mul_f64 v[106:107], v[106:107], 0.5
	v_mul_f64 v[138:139], v[114:115], s[10:11]
	v_mul_f64 v[114:115], v[114:115], -0.5
	v_fma_f64 v[112:113], v[110:111], 0.5, v[108:109]
	s_delay_alu instid0(VALU_DEP_4)
	v_fma_f64 v[142:143], v[110:111], s[4:5], v[106:107]
	v_fma_f64 v[110:111], v[118:119], s[10:11], v[190:191]
	;; [unrolled: 1-line block ×3, first 2 shown]
	v_fma_f64 v[138:139], v[116:117], -0.5, v[138:139]
	v_fma_f64 v[140:141], v[116:117], s[4:5], v[114:115]
	v_add_f64 v[108:109], v[144:145], v[142:143]
	v_add_f64 v[106:107], v[110:111], v[112:113]
	v_add_f64 v[110:111], v[110:111], -v[112:113]
	v_add_f64 v[114:115], v[118:119], v[138:139]
	v_add_f64 v[118:119], v[118:119], -v[138:139]
	;; [unrolled: 2-line block ×5, first 2 shown]
	v_fma_f64 v[140:141], v[130:131], s[4:5], v[176:177]
	v_add_f64 v[112:113], v[144:145], -v[142:143]
	v_fma_f64 v[57:58], v[138:139], -0.5, v[57:58]
	v_fma_f64 v[59:60], v[126:127], -0.5, v[59:60]
	s_delay_alu instid0(VALU_DEP_2) | instskip(SKIP_1) | instid1(VALU_DEP_3)
	v_fma_f64 v[126:127], v[136:137], s[10:11], v[57:58]
	v_fma_f64 v[57:58], v[136:137], s[4:5], v[57:58]
	;; [unrolled: 1-line block ×5, first 2 shown]
	s_delay_alu instid0(VALU_DEP_3) | instskip(SKIP_1) | instid1(VALU_DEP_2)
	v_mul_f64 v[124:125], v[122:123], s[10:11]
	v_mul_f64 v[122:123], v[122:123], 0.5
	v_fma_f64 v[128:129], v[126:127], 0.5, v[124:125]
	s_delay_alu instid0(VALU_DEP_2) | instskip(SKIP_1) | instid1(VALU_DEP_2)
	v_fma_f64 v[138:139], v[126:127], s[4:5], v[122:123]
	v_fma_f64 v[126:127], v[132:133], s[10:11], v[174:175]
	v_add_f64 v[124:125], v[140:141], v[138:139]
	s_delay_alu instid0(VALU_DEP_2)
	v_add_f64 v[122:123], v[126:127], v[128:129]
	v_add_f64 v[126:127], v[126:127], -v[128:129]
	v_add_f64 v[128:129], v[140:141], -v[138:139]
	v_fma_f64 v[138:139], v[130:131], s[10:11], v[176:177]
	v_mul_f64 v[130:131], v[59:60], s[10:11]
	v_mul_f64 v[59:60], v[59:60], -0.5
	s_delay_alu instid0(VALU_DEP_2) | instskip(NEXT) | instid1(VALU_DEP_2)
	v_fma_f64 v[136:137], v[57:58], -0.5, v[130:131]
	v_fma_f64 v[57:58], v[57:58], s[4:5], v[59:60]
	v_add_f64 v[59:60], v[162:163], -v[170:171]
	s_delay_alu instid0(VALU_DEP_3) | instskip(NEXT) | instid1(VALU_DEP_3)
	v_add_f64 v[130:131], v[134:135], v[136:137]
	v_add_f64 v[132:133], v[138:139], v[57:58]
	v_add_f64 v[134:135], v[134:135], -v[136:137]
	v_add_f64 v[136:137], v[138:139], -v[57:58]
	v_add_f64 v[138:139], v[164:165], v[172:173]
	v_add_f64 v[57:58], v[162:163], v[170:171]
	s_delay_alu instid0(VALU_DEP_2) | instskip(NEXT) | instid1(VALU_DEP_2)
	v_fma_f64 v[146:147], v[138:139], -0.5, v[156:157]
	v_fma_f64 v[57:58], v[57:58], -0.5, v[154:155]
	v_fma_f64 v[156:157], v[150:151], s[4:5], v[196:197]
	s_delay_alu instid0(VALU_DEP_3) | instskip(NEXT) | instid1(VALU_DEP_3)
	v_fma_f64 v[138:139], v[59:60], s[4:5], v[146:147]
	v_fma_f64 v[142:143], v[152:153], s[10:11], v[57:58]
	;; [unrolled: 1-line block ×5, first 2 shown]
	v_mul_f64 v[140:141], v[138:139], s[10:11]
	v_mul_f64 v[138:139], v[138:139], 0.5
	v_mul_f64 v[146:147], v[59:60], s[10:11]
	v_mul_f64 v[59:60], v[59:60], -0.5
	s_delay_alu instid0(VALU_DEP_4) | instskip(NEXT) | instid1(VALU_DEP_4)
	v_fma_f64 v[144:145], v[142:143], 0.5, v[140:141]
	v_fma_f64 v[154:155], v[142:143], s[4:5], v[138:139]
	v_fma_f64 v[142:143], v[148:149], s[10:11], v[194:195]
	s_delay_alu instid0(VALU_DEP_2) | instskip(NEXT) | instid1(VALU_DEP_2)
	v_add_f64 v[140:141], v[156:157], v[154:155]
	v_add_f64 v[138:139], v[142:143], v[144:145]
	v_add_f64 v[142:143], v[142:143], -v[144:145]
	v_add_f64 v[144:145], v[156:157], -v[154:155]
	v_fma_f64 v[154:155], v[150:151], s[10:11], v[196:197]
	v_fma_f64 v[150:151], v[57:58], -0.5, v[146:147]
	v_fma_f64 v[57:58], v[57:58], s[4:5], v[59:60]
	s_delay_alu instid0(VALU_DEP_2) | instskip(NEXT) | instid1(VALU_DEP_2)
	v_add_f64 v[146:147], v[152:153], v[150:151]
	v_add_f64 v[148:149], v[154:155], v[57:58]
	v_add_f64 v[150:151], v[152:153], -v[150:151]
	v_add_f64 v[152:153], v[154:155], -v[57:58]
	ds_store_b128 v210, v[8:11] offset:960
	ds_store_b128 v210, v[12:15] offset:1920
	;; [unrolled: 1-line block ×34, first 2 shown]
	ds_store_b128 v210, v[0:3]
	ds_store_b128 v210, v[150:153] offset:33600
	s_waitcnt lgkmcnt(0)
	s_barrier
	buffer_gl0_inv
	s_and_saveexec_b32 s0, vcc_lo
	s_cbranch_execz .LBB0_23
; %bb.22:
	v_mul_lo_u32 v0, s3, v64
	v_mul_lo_u32 v3, s2, v65
	v_mad_u64_u32 v[1:2], null, s2, v64, 0
	v_dual_mov_b32 v254, 0 :: v_dual_add_nc_u32 v9, 60, v253
	v_lshlrev_b64 v[7:8], 4, v[62:63]
	v_add_nc_u32_e32 v11, 0x78, v253
	s_delay_alu instid0(VALU_DEP_3)
	v_dual_mov_b32 v10, v254 :: v_dual_add_nc_u32 v19, 0xb4, v253
	v_add3_u32 v2, v2, v3, v0
	v_lshlrev_b64 v[13:14], 4, v[253:254]
	v_lshl_add_u32 v0, v253, 4, 0
	v_mov_b32_e32 v12, v254
	v_dual_mov_b32 v20, v254 :: v_dual_add_nc_u32 v23, 0xf0, v253
	v_lshlrev_b64 v[1:2], 4, v[1:2]
	ds_load_b128 v[3:6], v0
	v_lshlrev_b64 v[21:22], 4, v[11:12]
	v_lshlrev_b64 v[19:20], 4, v[19:20]
	v_dual_mov_b32 v24, v254 :: v_dual_add_nc_u32 v41, 0x12c, v253
	v_add_co_u32 v1, vcc_lo, s6, v1
	v_add_co_ci_u32_e32 v2, vcc_lo, s7, v2, vcc_lo
	s_delay_alu instid0(VALU_DEP_3) | instskip(NEXT) | instid1(VALU_DEP_3)
	v_lshlrev_b64 v[39:40], 4, v[23:24]
	v_add_co_u32 v1, vcc_lo, v1, v7
	s_delay_alu instid0(VALU_DEP_3) | instskip(SKIP_1) | instid1(VALU_DEP_3)
	v_add_co_ci_u32_e32 v2, vcc_lo, v2, v8, vcc_lo
	v_lshlrev_b64 v[7:8], 4, v[9:10]
	v_add_co_u32 v31, vcc_lo, v1, v13
	s_delay_alu instid0(VALU_DEP_3) | instskip(SKIP_1) | instid1(VALU_DEP_4)
	v_add_co_ci_u32_e32 v32, vcc_lo, v2, v14, vcc_lo
	v_mov_b32_e32 v42, v254
	v_add_co_u32 v33, vcc_lo, v1, v7
	v_add_co_ci_u32_e32 v34, vcc_lo, v2, v8, vcc_lo
	ds_load_b128 v[7:10], v0 offset:960
	ds_load_b128 v[11:14], v0 offset:1920
	;; [unrolled: 1-line block ×3, first 2 shown]
	v_add_co_u32 v35, vcc_lo, v1, v21
	v_add_co_ci_u32_e32 v36, vcc_lo, v2, v22, vcc_lo
	v_add_co_u32 v37, vcc_lo, v1, v19
	v_add_co_ci_u32_e32 v38, vcc_lo, v2, v20, vcc_lo
	ds_load_b128 v[19:22], v0 offset:3840
	ds_load_b128 v[23:26], v0 offset:4800
	;; [unrolled: 1-line block ×3, first 2 shown]
	s_waitcnt lgkmcnt(6)
	global_store_b128 v[31:32], v[3:6], off
	s_waitcnt lgkmcnt(5)
	global_store_b128 v[33:34], v[7:10], off
	;; [unrolled: 2-line block ×4, first 2 shown]
	v_add_nc_u32_e32 v5, 0x168, v253
	v_lshlrev_b64 v[3:4], 4, v[41:42]
	v_add_co_u32 v7, vcc_lo, v1, v39
	v_dual_mov_b32 v6, v254 :: v_dual_add_nc_u32 v11, 0x1a4, v253
	v_add_co_ci_u32_e32 v8, vcc_lo, v2, v40, vcc_lo
	s_delay_alu instid0(VALU_DEP_4)
	v_add_co_u32 v9, vcc_lo, v1, v3
	v_mov_b32_e32 v12, v254
	v_add_co_ci_u32_e32 v10, vcc_lo, v2, v4, vcc_lo
	v_lshlrev_b64 v[13:14], 4, v[5:6]
	ds_load_b128 v[3:6], v0 offset:5760
	s_waitcnt lgkmcnt(3)
	global_store_b128 v[7:8], v[19:22], off
	s_waitcnt lgkmcnt(2)
	global_store_b128 v[9:10], v[23:26], off
	v_add_nc_u32_e32 v9, 0x1e0, v253
	v_lshlrev_b64 v[7:8], 4, v[11:12]
	v_dual_mov_b32 v10, v254 :: v_dual_add_nc_u32 v19, 0x21c, v253
	v_add_co_u32 v31, vcc_lo, v1, v13
	v_add_co_ci_u32_e32 v32, vcc_lo, v2, v14, vcc_lo
	s_delay_alu instid0(VALU_DEP_4)
	v_add_co_u32 v33, vcc_lo, v1, v7
	v_dual_mov_b32 v20, v254 :: v_dual_add_nc_u32 v23, 0x258, v253
	v_add_co_ci_u32_e32 v34, vcc_lo, v2, v8, vcc_lo
	v_lshlrev_b64 v[21:22], 4, v[9:10]
	ds_load_b128 v[7:10], v0 offset:6720
	ds_load_b128 v[11:14], v0 offset:7680
	;; [unrolled: 1-line block ×3, first 2 shown]
	v_lshlrev_b64 v[19:20], 4, v[19:20]
	v_dual_mov_b32 v24, v254 :: v_dual_add_nc_u32 v41, 0x294, v253
	v_add_co_u32 v35, vcc_lo, v1, v21
	v_add_co_ci_u32_e32 v36, vcc_lo, v2, v22, vcc_lo
	s_delay_alu instid0(VALU_DEP_4)
	v_add_co_u32 v37, vcc_lo, v1, v19
	v_add_co_ci_u32_e32 v38, vcc_lo, v2, v20, vcc_lo
	ds_load_b128 v[19:22], v0 offset:9600
	v_lshlrev_b64 v[39:40], 4, v[23:24]
	ds_load_b128 v[23:26], v0 offset:10560
	s_waitcnt lgkmcnt(5)
	global_store_b128 v[31:32], v[3:6], off
	s_waitcnt lgkmcnt(4)
	global_store_b128 v[33:34], v[7:10], off
	;; [unrolled: 2-line block ×4, first 2 shown]
	v_lshlrev_b64 v[3:4], 4, v[41:42]
	v_add_co_u32 v7, vcc_lo, v1, v39
	v_dual_mov_b32 v6, v254 :: v_dual_add_nc_u32 v5, 0x2d0, v253
	v_add_co_ci_u32_e32 v8, vcc_lo, v2, v40, vcc_lo
	s_delay_alu instid0(VALU_DEP_4)
	v_add_co_u32 v9, vcc_lo, v1, v3
	v_dual_mov_b32 v12, v254 :: v_dual_add_nc_u32 v11, 0x30c, v253
	v_add_co_ci_u32_e32 v10, vcc_lo, v2, v4, vcc_lo
	v_lshlrev_b64 v[13:14], 4, v[5:6]
	ds_load_b128 v[3:6], v0 offset:11520
	s_waitcnt lgkmcnt(2)
	global_store_b128 v[7:8], v[19:22], off
	s_waitcnt lgkmcnt(1)
	global_store_b128 v[9:10], v[23:26], off
	v_lshlrev_b64 v[7:8], 4, v[11:12]
	v_dual_mov_b32 v10, v254 :: v_dual_add_nc_u32 v9, 0x348, v253
	v_add_co_u32 v31, vcc_lo, v1, v13
	v_add_co_ci_u32_e32 v32, vcc_lo, v2, v14, vcc_lo
	s_delay_alu instid0(VALU_DEP_4)
	v_add_co_u32 v33, vcc_lo, v1, v7
	v_dual_mov_b32 v20, v254 :: v_dual_add_nc_u32 v19, 0x384, v253
	v_add_co_ci_u32_e32 v34, vcc_lo, v2, v8, vcc_lo
	v_lshlrev_b64 v[21:22], 4, v[9:10]
	ds_load_b128 v[7:10], v0 offset:12480
	ds_load_b128 v[11:14], v0 offset:13440
	;; [unrolled: 1-line block ×3, first 2 shown]
	v_lshlrev_b64 v[19:20], 4, v[19:20]
	v_dual_mov_b32 v24, v254 :: v_dual_add_nc_u32 v23, 0x3c0, v253
	v_add_nc_u32_e32 v41, 0x3fc, v253
	v_add_co_u32 v35, vcc_lo, v1, v21
	v_add_co_ci_u32_e32 v36, vcc_lo, v2, v22, vcc_lo
	v_add_co_u32 v37, vcc_lo, v1, v19
	v_add_co_ci_u32_e32 v38, vcc_lo, v2, v20, vcc_lo
	ds_load_b128 v[19:22], v0 offset:15360
	v_lshlrev_b64 v[39:40], 4, v[23:24]
	ds_load_b128 v[23:26], v0 offset:16320
	s_waitcnt lgkmcnt(5)
	global_store_b128 v[31:32], v[3:6], off
	s_waitcnt lgkmcnt(4)
	global_store_b128 v[33:34], v[7:10], off
	;; [unrolled: 2-line block ×4, first 2 shown]
	v_mov_b32_e32 v6, v254
	v_lshlrev_b64 v[3:4], 4, v[41:42]
	v_add_co_u32 v7, vcc_lo, v1, v39
	v_dual_mov_b32 v12, v254 :: v_dual_add_nc_u32 v5, 0x438, v253
	v_add_co_ci_u32_e32 v8, vcc_lo, v2, v40, vcc_lo
	s_delay_alu instid0(VALU_DEP_4)
	v_add_co_u32 v9, vcc_lo, v1, v3
	v_add_nc_u32_e32 v11, 0x474, v253
	v_add_co_ci_u32_e32 v10, vcc_lo, v2, v4, vcc_lo
	v_lshlrev_b64 v[13:14], 4, v[5:6]
	ds_load_b128 v[3:6], v0 offset:17280
	s_waitcnt lgkmcnt(2)
	global_store_b128 v[7:8], v[19:22], off
	s_waitcnt lgkmcnt(1)
	global_store_b128 v[9:10], v[23:26], off
	v_mov_b32_e32 v10, v254
	v_lshlrev_b64 v[7:8], 4, v[11:12]
	v_dual_mov_b32 v20, v254 :: v_dual_add_nc_u32 v9, 0x4b0, v253
	v_add_co_u32 v31, vcc_lo, v1, v13
	v_add_co_ci_u32_e32 v32, vcc_lo, v2, v14, vcc_lo
	s_delay_alu instid0(VALU_DEP_4)
	v_add_co_u32 v33, vcc_lo, v1, v7
	v_dual_mov_b32 v24, v254 :: v_dual_add_nc_u32 v19, 0x4ec, v253
	v_add_co_ci_u32_e32 v34, vcc_lo, v2, v8, vcc_lo
	v_lshlrev_b64 v[21:22], 4, v[9:10]
	ds_load_b128 v[7:10], v0 offset:18240
	ds_load_b128 v[11:14], v0 offset:19200
	;; [unrolled: 1-line block ×3, first 2 shown]
	v_lshlrev_b64 v[19:20], 4, v[19:20]
	v_add_nc_u32_e32 v23, 0x528, v253
	v_add_nc_u32_e32 v41, 0x564, v253
	v_add_co_u32 v35, vcc_lo, v1, v21
	v_add_co_ci_u32_e32 v36, vcc_lo, v2, v22, vcc_lo
	v_add_co_u32 v37, vcc_lo, v1, v19
	v_add_co_ci_u32_e32 v38, vcc_lo, v2, v20, vcc_lo
	ds_load_b128 v[19:22], v0 offset:21120
	v_lshlrev_b64 v[39:40], 4, v[23:24]
	ds_load_b128 v[23:26], v0 offset:22080
	s_waitcnt lgkmcnt(5)
	global_store_b128 v[31:32], v[3:6], off
	s_waitcnt lgkmcnt(4)
	global_store_b128 v[33:34], v[7:10], off
	;; [unrolled: 2-line block ×4, first 2 shown]
	v_mov_b32_e32 v12, v254
	v_lshlrev_b64 v[3:4], 4, v[41:42]
	v_add_co_u32 v7, vcc_lo, v1, v39
	v_dual_mov_b32 v6, v254 :: v_dual_add_nc_u32 v5, 0x5a0, v253
	v_add_co_ci_u32_e32 v8, vcc_lo, v2, v40, vcc_lo
	s_delay_alu instid0(VALU_DEP_4)
	v_add_co_u32 v9, vcc_lo, v1, v3
	v_add_nc_u32_e32 v11, 0x5dc, v253
	v_add_co_ci_u32_e32 v10, vcc_lo, v2, v4, vcc_lo
	v_lshlrev_b64 v[13:14], 4, v[5:6]
	ds_load_b128 v[3:6], v0 offset:23040
	s_waitcnt lgkmcnt(2)
	global_store_b128 v[7:8], v[19:22], off
	s_waitcnt lgkmcnt(1)
	global_store_b128 v[9:10], v[23:26], off
	v_mov_b32_e32 v20, v254
	v_lshlrev_b64 v[7:8], 4, v[11:12]
	v_dual_mov_b32 v24, v254 :: v_dual_add_nc_u32 v9, 0x618, v253
	v_add_co_u32 v31, vcc_lo, v1, v13
	v_mov_b32_e32 v10, v254
	v_add_co_ci_u32_e32 v32, vcc_lo, v2, v14, vcc_lo
	v_add_co_u32 v33, vcc_lo, v1, v7
	v_add_nc_u32_e32 v19, 0x654, v253
	v_add_co_ci_u32_e32 v34, vcc_lo, v2, v8, vcc_lo
	v_lshlrev_b64 v[21:22], 4, v[9:10]
	ds_load_b128 v[7:10], v0 offset:24000
	ds_load_b128 v[11:14], v0 offset:24960
	;; [unrolled: 1-line block ×3, first 2 shown]
	v_lshlrev_b64 v[19:20], 4, v[19:20]
	v_add_nc_u32_e32 v23, 0x690, v253
	v_add_nc_u32_e32 v41, 0x6cc, v253
	v_add_co_u32 v35, vcc_lo, v1, v21
	v_add_co_ci_u32_e32 v36, vcc_lo, v2, v22, vcc_lo
	v_add_co_u32 v37, vcc_lo, v1, v19
	v_add_co_ci_u32_e32 v38, vcc_lo, v2, v20, vcc_lo
	ds_load_b128 v[19:22], v0 offset:26880
	v_lshlrev_b64 v[39:40], 4, v[23:24]
	ds_load_b128 v[23:26], v0 offset:27840
	s_waitcnt lgkmcnt(5)
	global_store_b128 v[31:32], v[3:6], off
	s_waitcnt lgkmcnt(4)
	global_store_b128 v[33:34], v[7:10], off
	;; [unrolled: 2-line block ×4, first 2 shown]
	v_mov_b32_e32 v16, v254
	v_lshlrev_b64 v[3:4], 4, v[41:42]
	v_add_co_u32 v7, vcc_lo, v1, v39
	v_dual_mov_b32 v18, v254 :: v_dual_add_nc_u32 v5, 0x708, v253
	v_mov_b32_e32 v6, v254
	v_add_co_ci_u32_e32 v8, vcc_lo, v2, v40, vcc_lo
	v_add_co_u32 v9, vcc_lo, v1, v3
	v_dual_mov_b32 v32, v254 :: v_dual_add_nc_u32 v11, 0x744, v253
	v_mov_b32_e32 v12, v254
	v_add_co_ci_u32_e32 v10, vcc_lo, v2, v4, vcc_lo
	v_lshlrev_b64 v[13:14], 4, v[5:6]
	v_add_nc_u32_e32 v15, 0x780, v253
	ds_load_b128 v[3:6], v0 offset:28800
	s_waitcnt lgkmcnt(2)
	global_store_b128 v[7:8], v[19:22], off
	s_waitcnt lgkmcnt(1)
	global_store_b128 v[9:10], v[23:26], off
	v_lshlrev_b64 v[7:8], 4, v[11:12]
	v_add_nc_u32_e32 v17, 0x7bc, v253
	v_add_co_u32 v23, vcc_lo, v1, v13
	v_lshlrev_b64 v[15:16], 4, v[15:16]
	v_add_co_ci_u32_e32 v24, vcc_lo, v2, v14, vcc_lo
	v_add_co_u32 v25, vcc_lo, v1, v7
	v_add_co_ci_u32_e32 v26, vcc_lo, v2, v8, vcc_lo
	s_delay_alu instid0(VALU_DEP_4)
	v_add_co_u32 v33, vcc_lo, v1, v15
	ds_load_b128 v[7:10], v0 offset:29760
	ds_load_b128 v[11:14], v0 offset:30720
	v_add_co_ci_u32_e32 v34, vcc_lo, v2, v16, vcc_lo
	v_lshlrev_b64 v[35:36], 4, v[17:18]
	ds_load_b128 v[15:18], v0 offset:31680
	ds_load_b128 v[19:22], v0 offset:32640
	v_add_nc_u32_e32 v31, 0x7f8, v253
	v_add_nc_u32_e32 v253, 0x834, v253
	v_add_co_u32 v35, vcc_lo, v1, v35
	s_delay_alu instid0(VALU_DEP_3) | instskip(NEXT) | instid1(VALU_DEP_3)
	v_lshlrev_b64 v[31:32], 4, v[31:32]
	v_lshlrev_b64 v[37:38], 4, v[253:254]
	v_add_co_ci_u32_e32 v36, vcc_lo, v2, v36, vcc_lo
	s_delay_alu instid0(VALU_DEP_3) | instskip(NEXT) | instid1(VALU_DEP_4)
	v_add_co_u32 v31, vcc_lo, v1, v31
	v_add_co_ci_u32_e32 v32, vcc_lo, v2, v32, vcc_lo
	s_delay_alu instid0(VALU_DEP_4)
	v_add_co_u32 v0, vcc_lo, v1, v37
	v_add_co_ci_u32_e32 v1, vcc_lo, v2, v38, vcc_lo
	s_waitcnt lgkmcnt(4)
	global_store_b128 v[23:24], v[3:6], off
	s_waitcnt lgkmcnt(3)
	global_store_b128 v[25:26], v[7:10], off
	;; [unrolled: 2-line block ×4, first 2 shown]
	s_waitcnt lgkmcnt(0)
	s_clause 0x1
	global_store_b128 v[31:32], v[19:22], off
	global_store_b128 v[0:1], v[27:30], off
.LBB0_23:
	s_nop 0
	s_sendmsg sendmsg(MSG_DEALLOC_VGPRS)
	s_endpgm
	.section	.rodata,"a",@progbits
	.p2align	6, 0x0
	.amdhsa_kernel fft_rtc_back_len2160_factors_10_6_6_6_wgs_60_tpt_60_halfLds_dp_op_CI_CI_unitstride_sbrr_C2R_dirReg
		.amdhsa_group_segment_fixed_size 0
		.amdhsa_private_segment_fixed_size 156
		.amdhsa_kernarg_size 104
		.amdhsa_user_sgpr_count 15
		.amdhsa_user_sgpr_dispatch_ptr 0
		.amdhsa_user_sgpr_queue_ptr 0
		.amdhsa_user_sgpr_kernarg_segment_ptr 1
		.amdhsa_user_sgpr_dispatch_id 0
		.amdhsa_user_sgpr_private_segment_size 0
		.amdhsa_wavefront_size32 1
		.amdhsa_uses_dynamic_stack 0
		.amdhsa_enable_private_segment 1
		.amdhsa_system_sgpr_workgroup_id_x 1
		.amdhsa_system_sgpr_workgroup_id_y 0
		.amdhsa_system_sgpr_workgroup_id_z 0
		.amdhsa_system_sgpr_workgroup_info 0
		.amdhsa_system_vgpr_workitem_id 0
		.amdhsa_next_free_vgpr 256
		.amdhsa_next_free_sgpr 27
		.amdhsa_reserve_vcc 1
		.amdhsa_float_round_mode_32 0
		.amdhsa_float_round_mode_16_64 0
		.amdhsa_float_denorm_mode_32 3
		.amdhsa_float_denorm_mode_16_64 3
		.amdhsa_dx10_clamp 1
		.amdhsa_ieee_mode 1
		.amdhsa_fp16_overflow 0
		.amdhsa_workgroup_processor_mode 1
		.amdhsa_memory_ordered 1
		.amdhsa_forward_progress 0
		.amdhsa_shared_vgpr_count 0
		.amdhsa_exception_fp_ieee_invalid_op 0
		.amdhsa_exception_fp_denorm_src 0
		.amdhsa_exception_fp_ieee_div_zero 0
		.amdhsa_exception_fp_ieee_overflow 0
		.amdhsa_exception_fp_ieee_underflow 0
		.amdhsa_exception_fp_ieee_inexact 0
		.amdhsa_exception_int_div_zero 0
	.end_amdhsa_kernel
	.text
.Lfunc_end0:
	.size	fft_rtc_back_len2160_factors_10_6_6_6_wgs_60_tpt_60_halfLds_dp_op_CI_CI_unitstride_sbrr_C2R_dirReg, .Lfunc_end0-fft_rtc_back_len2160_factors_10_6_6_6_wgs_60_tpt_60_halfLds_dp_op_CI_CI_unitstride_sbrr_C2R_dirReg
                                        ; -- End function
	.section	.AMDGPU.csdata,"",@progbits
; Kernel info:
; codeLenInByte = 29168
; NumSgprs: 29
; NumVgprs: 256
; ScratchSize: 156
; MemoryBound: 0
; FloatMode: 240
; IeeeMode: 1
; LDSByteSize: 0 bytes/workgroup (compile time only)
; SGPRBlocks: 3
; VGPRBlocks: 31
; NumSGPRsForWavesPerEU: 29
; NumVGPRsForWavesPerEU: 256
; Occupancy: 5
; WaveLimiterHint : 1
; COMPUTE_PGM_RSRC2:SCRATCH_EN: 1
; COMPUTE_PGM_RSRC2:USER_SGPR: 15
; COMPUTE_PGM_RSRC2:TRAP_HANDLER: 0
; COMPUTE_PGM_RSRC2:TGID_X_EN: 1
; COMPUTE_PGM_RSRC2:TGID_Y_EN: 0
; COMPUTE_PGM_RSRC2:TGID_Z_EN: 0
; COMPUTE_PGM_RSRC2:TIDIG_COMP_CNT: 0
	.text
	.p2alignl 7, 3214868480
	.fill 96, 4, 3214868480
	.type	__hip_cuid_c73657226ae62e6a,@object ; @__hip_cuid_c73657226ae62e6a
	.section	.bss,"aw",@nobits
	.globl	__hip_cuid_c73657226ae62e6a
__hip_cuid_c73657226ae62e6a:
	.byte	0                               ; 0x0
	.size	__hip_cuid_c73657226ae62e6a, 1

	.ident	"AMD clang version 19.0.0git (https://github.com/RadeonOpenCompute/llvm-project roc-6.4.0 25133 c7fe45cf4b819c5991fe208aaa96edf142730f1d)"
	.section	".note.GNU-stack","",@progbits
	.addrsig
	.addrsig_sym __hip_cuid_c73657226ae62e6a
	.amdgpu_metadata
---
amdhsa.kernels:
  - .args:
      - .actual_access:  read_only
        .address_space:  global
        .offset:         0
        .size:           8
        .value_kind:     global_buffer
      - .offset:         8
        .size:           8
        .value_kind:     by_value
      - .actual_access:  read_only
        .address_space:  global
        .offset:         16
        .size:           8
        .value_kind:     global_buffer
      - .actual_access:  read_only
        .address_space:  global
        .offset:         24
        .size:           8
        .value_kind:     global_buffer
      - .actual_access:  read_only
        .address_space:  global
        .offset:         32
        .size:           8
        .value_kind:     global_buffer
      - .offset:         40
        .size:           8
        .value_kind:     by_value
      - .actual_access:  read_only
        .address_space:  global
        .offset:         48
        .size:           8
        .value_kind:     global_buffer
      - .actual_access:  read_only
        .address_space:  global
        .offset:         56
        .size:           8
        .value_kind:     global_buffer
      - .offset:         64
        .size:           4
        .value_kind:     by_value
      - .actual_access:  read_only
        .address_space:  global
        .offset:         72
        .size:           8
        .value_kind:     global_buffer
      - .actual_access:  read_only
        .address_space:  global
        .offset:         80
        .size:           8
        .value_kind:     global_buffer
      - .actual_access:  read_only
        .address_space:  global
        .offset:         88
        .size:           8
        .value_kind:     global_buffer
      - .actual_access:  write_only
        .address_space:  global
        .offset:         96
        .size:           8
        .value_kind:     global_buffer
    .group_segment_fixed_size: 0
    .kernarg_segment_align: 8
    .kernarg_segment_size: 104
    .language:       OpenCL C
    .language_version:
      - 2
      - 0
    .max_flat_workgroup_size: 60
    .name:           fft_rtc_back_len2160_factors_10_6_6_6_wgs_60_tpt_60_halfLds_dp_op_CI_CI_unitstride_sbrr_C2R_dirReg
    .private_segment_fixed_size: 156
    .sgpr_count:     29
    .sgpr_spill_count: 0
    .symbol:         fft_rtc_back_len2160_factors_10_6_6_6_wgs_60_tpt_60_halfLds_dp_op_CI_CI_unitstride_sbrr_C2R_dirReg.kd
    .uniform_work_group_size: 1
    .uses_dynamic_stack: false
    .vgpr_count:     256
    .vgpr_spill_count: 38
    .wavefront_size: 32
    .workgroup_processor_mode: 1
amdhsa.target:   amdgcn-amd-amdhsa--gfx1100
amdhsa.version:
  - 1
  - 2
...

	.end_amdgpu_metadata
